;; amdgpu-corpus repo=ROCm/aiter kind=harvested arch=n/a opt=n/a

/root/src/amdgpu-assembly/repos/ROCm__aiter/hsa/gfx950/mla/mla_a8w8_qh128_m32x4_n16x2_msk0.co:	file format elf64-amdgpu

Disassembly of section .text:

0000000000002300 <_ZN5aiter31mla_a8w8_qh128_m32x4_n16x2_msk0E>:
	s_and_b32 s1, s1, 0xffff                                   // 000000002300: 8601FF01 0000FFFF
	s_load_dwordx2 s[8:9], s[0:1], 0x0                         // 000000002308: C0060200 00000000
	s_load_dwordx2 s[12:13], s[0:1], 0x10                      // 000000002310: C0060300 00000010
	s_load_dwordx2 s[16:17], s[0:1], 0x20                      // 000000002318: C0060400 00000020
	s_load_dwordx2 s[20:21], s[0:1], 0x30                      // 000000002320: C0060500 00000030
	s_load_dwordx2 s[28:29], s[0:1], 0x40                      // 000000002328: C0060700 00000040
	s_load_dwordx2 s[24:25], s[0:1], 0x50                      // 000000002330: C0060600 00000050
	s_load_dwordx2 s[30:31], s[0:1], 0x60                      // 000000002338: C0060780 00000060
	s_load_dword s64, s[0:1], 0x70                             // 000000002340: C0021000 00000070
	s_load_dword s65, s[0:1], 0x80                             // 000000002348: C0021040 00000080
	s_load_dword s67, s[0:1], 0x90                             // 000000002350: C00210C0 00000090
	s_load_dword s66, s[0:1], 0xa0                             // 000000002358: C0021080 000000A0
	s_load_dword s68, s[0:1], 0xb0                             // 000000002360: C0021100 000000B0
	s_load_dword s69, s[0:1], 0xc0                             // 000000002368: C0021140 000000C0
	s_load_dwordx2 s[32:33], s[0:1], 0xd0                      // 000000002370: C0060800 000000D0
	s_load_dwordx2 s[58:59], s[0:1], 0x100                     // 000000002378: C0060E80 00000100
	s_load_dwordx2 s[60:61], s[0:1], 0x110                     // 000000002380: C0060F00 00000110
	v_lshrrev_b32_e32 v1, 10, v0                               // 000000002388: 2002008A
	v_lshrrev_b32_e32 v2, 10, v1                               // 00000000238C: 2004028A
	v_and_b32_e32 v2, 0x3ff, v2                                // 000000002390: 260404FF 000003FF
	v_and_b32_e32 v1, 0x3ff, v1                                // 000000002398: 260202FF 000003FF
	v_and_b32_e32 v0, 0x3ff, v0                                // 0000000023A0: 260000FF 000003FF
	v_lshrrev_b32_e32 v3, 6, v0                                // 0000000023A8: 20060086
	v_and_b32_e32 v0, 63, v0                                   // 0000000023AC: 260000BF
	s_mov_b32 s2, s2                                           // 0000000023B0: BE820002
	s_mov_b32 s3, s3                                           // 0000000023B4: BE830003
	s_mov_b32 s4, s4                                           // 0000000023B8: BE840004
	v_readfirstlane_b32 s7, v3                                 // 0000000023BC: 7E0E0503
	s_waitcnt lgkmcnt(0)                                       // 0000000023C0: BF8CC07F
	s_mov_b32 s65, 0x80                                        // 0000000023C4: BEC100FF 00000080
	s_mul_i32 s56, s3, 4                                       // 0000000023CC: 92388403
	s_and_b32 s29, s29, 0xffff                                 // 0000000023D0: 861DFF1D 0000FFFF
	s_and_b32 s31, s31, 0xffff                                 // 0000000023D8: 861FFF1F 0000FFFF
	s_add_u32 s28, s56, s28                                    // 0000000023E0: 801C1C38
	s_addc_u32 s29, 0, s29                                     // 0000000023E4: 821D1D80
	s_load_dword s47, s[28:29], 0x0                            // 0000000023E8: C0020BCE 00000000
	s_load_dword s46, s[28:29], 0x4                            // 0000000023F0: C0020B8E 00000004
	s_mul_i32 s56, s3, 4                                       // 0000000023F8: 92388403
	s_and_b32 s33, s33, 0xffff                                 // 0000000023FC: 8621FF21 0000FFFF
	s_add_u32 s32, s56, s32                                    // 000000002404: 80202038
	s_addc_u32 s33, 0, s33                                     // 000000002408: 82212180
	s_load_dword s79, s[32:33], 0x0                            // 00000000240C: C00213D0 00000000
	s_load_dword s78, s[32:33], 0x4                            // 000000002414: C0021390 00000004
	s_mul_i32 s75, 0x800, s65                                  // 00000000241C: 924B41FF 00000800
	s_mul_i32 s74, 0x240, s65                                  // 000000002424: 924A41FF 00000240
	s_mul_i32 s56, 4, s65                                      // 00000000242C: 92384184
	s_mov_b32 s10, s75                                         // 000000002430: BE8A004B
	s_mov_b32 s18, -16                                         // 000000002434: BE9200D0
	s_mov_b32 s14, s56                                         // 000000002438: BE8E0038
	s_mov_b32 s22, -16                                         // 00000000243C: BE9600D0
	s_mov_b32 s26, -16                                         // 000000002440: BE9A00D0
	s_mov_b32 s11, 0x20000                                     // 000000002444: BE8B00FF 00020000
	s_mov_b32 s19, 0x20000                                     // 00000000244C: BE9300FF 00020000
	s_mov_b32 s15, 0x20000                                     // 000000002454: BE8F00FF 00020000
	s_mov_b32 s23, 0x20000                                     // 00000000245C: BE9700FF 00020000
	s_mov_b32 s27, 0x20000                                     // 000000002464: BE9B00FF 00020000
	s_and_b32 s9, s9, 0xffff                                   // 00000000246C: 8609FF09 0000FFFF
	s_and_b32 s17, s17, 0xffff                                 // 000000002474: 8611FF11 0000FFFF
	s_and_b32 s13, s13, 0xffff                                 // 00000000247C: 860DFF0D 0000FFFF
	s_and_b32 s21, s21, 0xffff                                 // 000000002484: 8615FF15 0000FFFF
	s_and_b32 s25, s25, 0xffff                                 // 00000000248C: 8619FF19 0000FFFF
	s_and_b32 s59, s59, 0xffff                                 // 000000002494: 863BFF3B 0000FFFF
	s_and_b32 s61, s61, 0xffff                                 // 00000000249C: 863DFF3D 0000FFFF
	s_or_b32 s9, s9, 0x40000                                   // 0000000024A4: 8709FF09 00040000
	s_or_b32 s17, s17, 0x40000                                 // 0000000024AC: 8711FF11 00040000
	s_or_b32 s13, s13, 0x40000                                 // 0000000024B4: 870DFF0D 00040000
	s_or_b32 s21, s21, 0x40000                                 // 0000000024BC: 8715FF15 00040000
	s_or_b32 s25, s25, 0x40000                                 // 0000000024C4: 8719FF19 00040000
	s_waitcnt lgkmcnt(0)                                       // 0000000024CC: BF8CC07F
	s_load_dword s42, s[58:59], 0x0                            // 0000000024D0: C0020A9D 00000000
	s_load_dword s43, s[60:61], 0x0                            // 0000000024D8: C0020ADE 00000000
	s_mul_i32 s80, s2, 1                                       // 0000000024E0: 92508102
	s_sub_u32 s81, s78, s79                                    // 0000000024E4: 80D14F4E
	s_cmp_le_u32 s81, s80                                      // 0000000024E8: BF0B5051
	s_cbranch_scc1 label_307F                                  // 0000000024EC: BF853003
	s_mov_b32 s69, 0                                           // 0000000024F0: BEC50080
	s_lshr_b32 s44, 32, s69                                    // 0000000024F4: 8F2C45A0
	s_mul_i32 s73, s44, 4                                      // 0000000024F8: 9249842C
	s_mul_i32 s73, s73, s67                                    // 0000000024FC: 92494349
	s_mul_i32 s45, s4, s44                                     // 000000002500: 922D2C04
	s_sub_u32 s50, s46, s47                                    // 000000002504: 80B22F2E
	s_cmp_le_u32 s50, s45                                      // 000000002508: BF0B2D32
	s_cbranch_scc1 label_307F                                  // 00000000250C: BF852FFB
	s_mul_i32 s56, s50, 4                                      // 000000002510: 92388432
	s_mov_b32 s26, s56                                         // 000000002514: BE9A0038
	s_mul_i32 s56, s47, 4                                      // 000000002518: 9238842F
	s_add_u32 s24, s56, s24                                    // 00000000251C: 80181838
	s_addc_u32 s25, 0, s25                                     // 000000002520: 82191980
	s_mov_b32 s70, 0                                           // 000000002524: BEC60080
	s_sub_u32 s71, s50, s45                                    // 000000002528: 80C72D32
	s_mul_i32 s39, s67, s44                                    // 00000000252C: 92272C43
	s_mov_b32 s38, s71                                         // 000000002530: BEA60047
	v_cvt_f32_u32_e32 v20, s39                                 // 000000002534: 7E280C27
	s_sub_i32 s56, 0, s39                                      // 000000002538: 81B82780
	v_rcp_iflag_f32_e32 v20, v20                               // 00000000253C: 7E284714
	s_nop 0                                                    // 000000002540: BF800000
	v_mul_f32_e32 v20, 0x4f7ffffe, v20                         // 000000002544: 0A2828FF 4F7FFFFE
	v_cvt_u32_f32_e32 v20, v20                                 // 00000000254C: 7E280F14
	v_mul_lo_u32 v21, s56, v20                                 // 000000002550: D2850015 00022838
	v_mul_hi_u32 v21, v20, v21                                 // 000000002558: D2860015 00022B14
	v_add_u32_e32 v20, v20, v21                                // 000000002560: 68282B14
	v_mul_hi_u32 v20, s38, v20                                 // 000000002564: D2860014 00022826
	v_mul_lo_u32 v21, v20, s39                                 // 00000000256C: D2850015 00004F14
	v_sub_u32_e32 v23, s38, v21                                // 000000002574: 6A2E2A26
	v_add_u32_e32 v22, 1, v20                                  // 000000002578: 682C2881
	v_cmp_le_u32_e32 vcc, s39, v23                             // 00000000257C: 7D962E27
	v_subrev_u32_e32 v21, s39, v23                             // 000000002580: 6C2A2E27
	s_nop 0                                                    // 000000002584: BF800000
	v_cndmask_b32_e32 v20, v20, v22, vcc                       // 000000002588: 00282D14
	v_cndmask_b32_e32 v23, v23, v21, vcc                       // 00000000258C: 002E2B17
	v_add_u32_e32 v21, 1, v20                                  // 000000002590: 682A2881
	v_cmp_le_u32_e32 vcc, s39, v23                             // 000000002594: 7D962E27
	s_nop 1                                                    // 000000002598: BF800001
	v_cndmask_b32_e32 v23, v20, v21, vcc                       // 00000000259C: 002E2B14
	s_nop 3                                                    // 0000000025A0: BF800003
	v_readfirstlane_b32 s40, v23                               // 0000000025A4: 7E500517
	s_nop 3                                                    // 0000000025A8: BF800003
	s_mov_b32 s71, s40                                         // 0000000025AC: BEC70028
	s_mul_i32 s56, s71, s39                                    // 0000000025B0: 92382747
	s_sub_u32 s56, s38, s56                                    // 0000000025B4: 80B83826
	s_mov_b32 s57, 0                                           // 0000000025B8: BEB90080
	s_cmp_lt_u32 s56, s44                                      // 0000000025BC: BF0A2C38
	s_cselect_b32 s57, s57, 1                                  // 0000000025C0: 85398139
	s_add_u32 s71, s57, s71                                    // 0000000025C4: 80474739
	s_cmpk_eq_u32 s57, 0x1                                     // 0000000025C8: B4390001
	s_cselect_b32 s49, 0, s56                                  // 0000000025CC: 85313880
	s_mov_b32 s48, s49                                         // 0000000025D0: BEB00031
	v_lshrrev_b32_e32 v20, 3, v0                               // 0000000025D4: 20280083
	v_and_b32_e32 v21, 1, v20                                  // 0000000025D8: 262A2881
	v_lshlrev_b32_e32 v8, 3, v21                               // 0000000025DC: 24102A83
	v_and_b32_e32 v20, 4, v20                                  // 0000000025E0: 26282884
	v_add_u32_e32 v8, v8, v20                                  // 0000000025E4: 68102908
	v_lshrrev_b32_e32 v20, 4, v0                               // 0000000025E8: 20280084
	v_lshlrev_b32_e32 v21, 2, v20                              // 0000000025EC: 242A2882
	v_lshrrev_b32_e32 v20, 5, v0                               // 0000000025F0: 20280085
	v_lshlrev_b32_e32 v20, 2, v20                              // 0000000025F4: 24282882
	v_add_u32_e32 v21, v20, v21                                // 0000000025F8: 682A2B14
	v_add_u32_e32 v8, v21, v8                                  // 0000000025FC: 68101115
	v_add_u32_e64 v8, v8, s7                                   // 000000002600: D1340008 00000F08
	v_add_u32_e32 v8, s45, v8                                  // 000000002608: 6810102D
	v_lshlrev_b32_e32 v8, 2, v8                                // 00000000260C: 24101082
	buffer_load_dword v10, v8, s[24:27], 0 offen               // 000000002610: E0501000 80060A08
	v_add_u32_e32 v8, s73, v8                                  // 000000002618: 68101049
	buffer_load_dword v11, v8, s[24:27], 0 offen               // 00000000261C: E0501000 80060B08
	v_add_u32_e32 v8, s73, v8                                  // 000000002624: 68101049
	s_add_u32 s56, s80, s79                                    // 000000002628: 80384F50
	v_mov_b32_e32 v20, s56                                     // 00000000262C: 7E280238
	v_mul_lo_u32 v21, s74, v20                                 // 000000002630: D2850015 0002284A
	v_mul_hi_u32 v22, s74, v20                                 // 000000002638: D2860016 0002284A
	s_nop 2                                                    // 000000002640: BF800002
	v_readfirstlane_b32 s56, v21                               // 000000002644: 7E700515
	v_readfirstlane_b32 s57, v22                               // 000000002648: 7E720516
	s_nop 4                                                    // 00000000264C: BF800004
	s_add_u32 s16, s56, s16                                    // 000000002650: 80101038
	s_addc_u32 s17, s57, s17                                   // 000000002654: 82111139
	s_sub_u32 s56, s81, s80                                    // 000000002658: 80B85051
	s_mul_i32 s56, s56, s74                                    // 00000000265C: 92384A38
	s_mov_b32 s18, s56                                         // 000000002660: BE920038
	s_mul_i32 s56, s7, 0x240                                   // 000000002664: 9238FF07 00000240
	v_lshlrev_b32_e32 v30, 2, v0                               // 00000000266C: 243C0082
	v_add_u32_e32 v30, s56, v30                                // 000000002670: 683C3C38
	s_mul_i32 s56, s7, 0xc20                                   // 000000002674: 9238FF07 00000C20
	s_add_u32 s34, 0, s56                                      // 00000000267C: 80223880
	s_add_u32 s35, 0x3080, s34                                 // 000000002680: 802322FF 00003080
	s_add_u32 s36, 0x3080, s35                                 // 000000002688: 802423FF 00003080
	v_lshrrev_b32_e32 v20, 4, v0                               // 000000002690: 20280084
	v_lshlrev_b32_e32 v21, 2, v20                              // 000000002694: 242A2882
	v_and_b32_e32 v20, 15, v0                                  // 000000002698: 2628008F
	v_lshrrev_b32_e32 v22, 2, v20                              // 00000000269C: 202C2882
	v_mul_i32_i24_e32 v22, 0xc0, v22                           // 0000000026A0: 0C2C2CFF 000000C0
	v_add_u32_e32 v21, v22, v21                                // 0000000026A8: 682A2B16
	v_and_b32_e32 v20, 3, v0                                   // 0000000026AC: 26280083
	v_mul_i32_i24_e32 v22, 0x308, v20                          // 0000000026B0: 0C2C28FF 00000308
	v_add_u32_e32 v21, v22, v21                                // 0000000026B8: 682A2B16
	v_lshlrev_b32_e32 v29, 2, v21                              // 0000000026BC: 243A2A82
	s_mov_b32 m0, s34                                          // 0000000026C0: BEFC0022
	v_add_u32_e32 v28, 0, v30                                  // 0000000026C4: 68383C80
	buffer_load_dword v28, s[16:19], 0 offen lds               // 0000000026C8: E0511000 8004001C
	buffer_load_dword v28, s[16:19], 0 offen offset:256 lds    // 0000000026D0: E0511100 8004001C
	buffer_load_dword v28, s[16:19], 0 offen offset:512 lds    // 0000000026D8: E0511200 8004001C
	s_add_u32 m0, m0, 0x300                                    // 0000000026E0: 807CFF7C 00000300
	v_add_u32_e32 v28, 0x900, v28                              // 0000000026E8: 683838FF 00000900
	buffer_load_dword v28, s[16:19], 0 offen lds               // 0000000026F0: E0511000 8004001C
	buffer_load_dword v28, s[16:19], 0 offen offset:256 lds    // 0000000026F8: E0511100 8004001C
	buffer_load_dword v28, s[16:19], 0 offen offset:512 lds    // 000000002700: E0511200 8004001C
	s_add_u32 m0, m0, 0x300                                    // 000000002708: 807CFF7C 00000300
	v_add_u32_e32 v28, 0x900, v28                              // 000000002710: 683838FF 00000900
	buffer_load_dword v28, s[16:19], 0 offen lds               // 000000002718: E0511000 8004001C
	buffer_load_dword v28, s[16:19], 0 offen offset:256 lds    // 000000002720: E0511100 8004001C
	buffer_load_dword v28, s[16:19], 0 offen offset:512 lds    // 000000002728: E0511200 8004001C
	s_add_u32 m0, m0, 0x300                                    // 000000002730: 807CFF7C 00000300
	v_add_u32_e32 v28, 0x900, v28                              // 000000002738: 683838FF 00000900
	buffer_load_dword v28, s[16:19], 0 offen lds               // 000000002740: E0511000 8004001C
	buffer_load_dword v28, s[16:19], 0 offen offset:256 lds    // 000000002748: E0511100 8004001C
	buffer_load_dword v28, s[16:19], 0 offen offset:512 lds    // 000000002750: E0511200 8004001C
	s_add_u32 m0, m0, 0x300                                    // 000000002758: 807CFF7C 00000300
	v_add_u32_e32 v28, 0x900, v28                              // 000000002760: 683838FF 00000900
	s_mov_b32 m0, s35                                          // 000000002768: BEFC0023
	v_add_u32_e32 v28, 0x2400, v30                             // 00000000276C: 68383CFF 00002400
	buffer_load_dword v28, s[16:19], 0 offen lds               // 000000002774: E0511000 8004001C
	buffer_load_dword v28, s[16:19], 0 offen offset:256 lds    // 00000000277C: E0511100 8004001C
	buffer_load_dword v28, s[16:19], 0 offen offset:512 lds    // 000000002784: E0511200 8004001C
	s_add_u32 m0, m0, 0x300                                    // 00000000278C: 807CFF7C 00000300
	v_add_u32_e32 v28, 0x900, v28                              // 000000002794: 683838FF 00000900
	buffer_load_dword v28, s[16:19], 0 offen lds               // 00000000279C: E0511000 8004001C
	buffer_load_dword v28, s[16:19], 0 offen offset:256 lds    // 0000000027A4: E0511100 8004001C
	buffer_load_dword v28, s[16:19], 0 offen offset:512 lds    // 0000000027AC: E0511200 8004001C
	s_add_u32 m0, m0, 0x300                                    // 0000000027B4: 807CFF7C 00000300
	v_add_u32_e32 v28, 0x900, v28                              // 0000000027BC: 683838FF 00000900
	buffer_load_dword v28, s[16:19], 0 offen lds               // 0000000027C4: E0511000 8004001C
	buffer_load_dword v28, s[16:19], 0 offen offset:256 lds    // 0000000027CC: E0511100 8004001C
	buffer_load_dword v28, s[16:19], 0 offen offset:512 lds    // 0000000027D4: E0511200 8004001C
	s_add_u32 m0, m0, 0x300                                    // 0000000027DC: 807CFF7C 00000300
	v_add_u32_e32 v28, 0x900, v28                              // 0000000027E4: 683838FF 00000900
	buffer_load_dword v28, s[16:19], 0 offen lds               // 0000000027EC: E0511000 8004001C
	buffer_load_dword v28, s[16:19], 0 offen offset:256 lds    // 0000000027F4: E0511100 8004001C
	buffer_load_dword v28, s[16:19], 0 offen offset:512 lds    // 0000000027FC: E0511200 8004001C
	s_add_u32 m0, m0, 0x300                                    // 000000002804: 807CFF7C 00000300
	v_add_u32_e32 v28, 0x900, v28                              // 00000000280C: 683838FF 00000900
	s_waitcnt vmcnt(12)                                        // 000000002814: BF8C0F7C
	s_barrier                                                  // 000000002818: BF8A0000
	s_waitcnt lgkmcnt(0)                                       // 00000000281C: BF8CC07F
	s_mov_b32 m0, s36                                          // 000000002820: BEFC0024
	v_add_u32_e32 v28, 0x4800, v30                             // 000000002824: 68383CFF 00004800
	buffer_load_dword v28, s[16:19], 0 offen lds               // 00000000282C: E0511000 8004001C
	buffer_load_dword v28, s[16:19], 0 offen offset:256 lds    // 000000002834: E0511100 8004001C
	buffer_load_dword v28, s[16:19], 0 offen offset:512 lds    // 00000000283C: E0511200 8004001C
	s_add_u32 m0, m0, 0x300                                    // 000000002844: 807CFF7C 00000300
	v_add_u32_e32 v28, 0x900, v28                              // 00000000284C: 683838FF 00000900
	buffer_load_dword v28, s[16:19], 0 offen lds               // 000000002854: E0511000 8004001C
	buffer_load_dword v28, s[16:19], 0 offen offset:256 lds    // 00000000285C: E0511100 8004001C
	buffer_load_dword v28, s[16:19], 0 offen offset:512 lds    // 000000002864: E0511200 8004001C
	s_add_u32 m0, m0, 0x300                                    // 00000000286C: 807CFF7C 00000300
	v_add_u32_e32 v28, 0x900, v28                              // 000000002874: 683838FF 00000900
	buffer_load_dword v28, s[16:19], 0 offen lds               // 00000000287C: E0511000 8004001C
	buffer_load_dword v28, s[16:19], 0 offen offset:256 lds    // 000000002884: E0511100 8004001C
	buffer_load_dword v28, s[16:19], 0 offen offset:512 lds    // 00000000288C: E0511200 8004001C
	s_add_u32 m0, m0, 0x300                                    // 000000002894: 807CFF7C 00000300
	v_add_u32_e32 v28, 0x900, v28                              // 00000000289C: 683838FF 00000900
	buffer_load_dword v28, s[16:19], 0 offen lds               // 0000000028A4: E0511000 8004001C
	buffer_load_dword v28, s[16:19], 0 offen offset:256 lds    // 0000000028AC: E0511100 8004001C
	buffer_load_dword v28, s[16:19], 0 offen offset:512 lds    // 0000000028B4: E0511200 8004001C
	s_add_u32 m0, m0, 0x300                                    // 0000000028BC: 807CFF7C 00000300
	v_add_u32_e32 v28, 0x900, v28                              // 0000000028C4: 683838FF 00000900
	s_cmp_eq_i32 s7, 0                                         // 0000000028CC: BF008007
	s_cbranch_scc0 label_0188                                  // 0000000028D0: BF840013
	ds_read_b128 a[0:3], v29                                   // 0000000028D4: DBFE0000 0000001D
	ds_read_b128 a[4:7], v29 offset:64                         // 0000000028DC: DBFE0040 0400001D
	ds_read_b128 a[8:11], v29 offset:128                       // 0000000028E4: DBFE0080 0800001D
	ds_read_b128 a[12:15], v29 offset:192                      // 0000000028EC: DBFE00C0 0C00001D
	ds_read_b128 a[16:19], v29 offset:256                      // 0000000028F4: DBFE0100 1000001D
	ds_read_b128 a[20:23], v29 offset:320                      // 0000000028FC: DBFE0140 1400001D
	ds_read_b128 a[24:27], v29 offset:384                      // 000000002904: DBFE0180 1800001D
	ds_read_b128 a[28:31], v29 offset:448                      // 00000000290C: DBFE01C0 1C00001D
	ds_read_b128 a[32:35], v29 offset:512                      // 000000002914: DBFE0200 2000001D
	s_waitcnt lgkmcnt(0)                                       // 00000000291C: BF8CC07F

0000000000002920 <label_0188>:
	s_waitcnt vmcnt(12)                                        // 000000002920: BF8C0F7C
	s_barrier                                                  // 000000002924: BF8A0000
	s_mov_b32 m0, s34                                          // 000000002928: BEFC0022
	v_add_u32_e32 v28, 0x6c00, v30                             // 00000000292C: 68383CFF 00006C00
	buffer_load_dword v28, s[16:19], 0 offen lds               // 000000002934: E0511000 8004001C
	buffer_load_dword v28, s[16:19], 0 offen offset:256 lds    // 00000000293C: E0511100 8004001C
	buffer_load_dword v28, s[16:19], 0 offen offset:512 lds    // 000000002944: E0511200 8004001C
	s_add_u32 m0, m0, 0x300                                    // 00000000294C: 807CFF7C 00000300
	v_add_u32_e32 v28, 0x900, v28                              // 000000002954: 683838FF 00000900
	buffer_load_dword v28, s[16:19], 0 offen lds               // 00000000295C: E0511000 8004001C
	buffer_load_dword v28, s[16:19], 0 offen offset:256 lds    // 000000002964: E0511100 8004001C
	buffer_load_dword v28, s[16:19], 0 offen offset:512 lds    // 00000000296C: E0511200 8004001C
	s_add_u32 m0, m0, 0x300                                    // 000000002974: 807CFF7C 00000300
	v_add_u32_e32 v28, 0x900, v28                              // 00000000297C: 683838FF 00000900
	buffer_load_dword v28, s[16:19], 0 offen lds               // 000000002984: E0511000 8004001C
	buffer_load_dword v28, s[16:19], 0 offen offset:256 lds    // 00000000298C: E0511100 8004001C
	buffer_load_dword v28, s[16:19], 0 offen offset:512 lds    // 000000002994: E0511200 8004001C
	s_add_u32 m0, m0, 0x300                                    // 00000000299C: 807CFF7C 00000300
	v_add_u32_e32 v28, 0x900, v28                              // 0000000029A4: 683838FF 00000900
	buffer_load_dword v28, s[16:19], 0 offen lds               // 0000000029AC: E0511000 8004001C
	buffer_load_dword v28, s[16:19], 0 offen offset:256 lds    // 0000000029B4: E0511100 8004001C
	buffer_load_dword v28, s[16:19], 0 offen offset:512 lds    // 0000000029BC: E0511200 8004001C
	s_add_u32 m0, m0, 0x300                                    // 0000000029C4: 807CFF7C 00000300
	v_add_u32_e32 v28, 0x900, v28                              // 0000000029CC: 683838FF 00000900
	s_cmp_eq_i32 s7, 1                                         // 0000000029D4: BF008107
	s_cbranch_scc0 label_01CA                                  // 0000000029D8: BF840013
	ds_read_b128 a[0:3], v29 offset:12416                      // 0000000029DC: DBFE3080 0000001D
	ds_read_b128 a[4:7], v29 offset:12480                      // 0000000029E4: DBFE30C0 0400001D
	ds_read_b128 a[8:11], v29 offset:12544                     // 0000000029EC: DBFE3100 0800001D
	ds_read_b128 a[12:15], v29 offset:12608                    // 0000000029F4: DBFE3140 0C00001D
	ds_read_b128 a[16:19], v29 offset:12672                    // 0000000029FC: DBFE3180 1000001D
	ds_read_b128 a[20:23], v29 offset:12736                    // 000000002A04: DBFE31C0 1400001D
	ds_read_b128 a[24:27], v29 offset:12800                    // 000000002A0C: DBFE3200 1800001D
	ds_read_b128 a[28:31], v29 offset:12864                    // 000000002A14: DBFE3240 1C00001D
	ds_read_b128 a[32:35], v29 offset:12928                    // 000000002A1C: DBFE3280 2000001D
	s_waitcnt lgkmcnt(0)                                       // 000000002A24: BF8CC07F

0000000000002a28 <label_01CA>:
	s_waitcnt vmcnt(12)                                        // 000000002A28: BF8C0F7C
	s_barrier                                                  // 000000002A2C: BF8A0000
	s_mov_b32 m0, s35                                          // 000000002A30: BEFC0023
	v_add_u32_e32 v28, 0x9000, v30                             // 000000002A34: 68383CFF 00009000
	buffer_load_dword v28, s[16:19], 0 offen lds               // 000000002A3C: E0511000 8004001C
	buffer_load_dword v28, s[16:19], 0 offen offset:256 lds    // 000000002A44: E0511100 8004001C
	buffer_load_dword v28, s[16:19], 0 offen offset:512 lds    // 000000002A4C: E0511200 8004001C
	s_add_u32 m0, m0, 0x300                                    // 000000002A54: 807CFF7C 00000300
	v_add_u32_e32 v28, 0x900, v28                              // 000000002A5C: 683838FF 00000900
	buffer_load_dword v28, s[16:19], 0 offen lds               // 000000002A64: E0511000 8004001C
	buffer_load_dword v28, s[16:19], 0 offen offset:256 lds    // 000000002A6C: E0511100 8004001C
	buffer_load_dword v28, s[16:19], 0 offen offset:512 lds    // 000000002A74: E0511200 8004001C
	s_add_u32 m0, m0, 0x300                                    // 000000002A7C: 807CFF7C 00000300
	v_add_u32_e32 v28, 0x900, v28                              // 000000002A84: 683838FF 00000900
	buffer_load_dword v28, s[16:19], 0 offen lds               // 000000002A8C: E0511000 8004001C
	buffer_load_dword v28, s[16:19], 0 offen offset:256 lds    // 000000002A94: E0511100 8004001C
	buffer_load_dword v28, s[16:19], 0 offen offset:512 lds    // 000000002A9C: E0511200 8004001C
	s_add_u32 m0, m0, 0x300                                    // 000000002AA4: 807CFF7C 00000300
	v_add_u32_e32 v28, 0x900, v28                              // 000000002AAC: 683838FF 00000900
	buffer_load_dword v28, s[16:19], 0 offen lds               // 000000002AB4: E0511000 8004001C
	buffer_load_dword v28, s[16:19], 0 offen offset:256 lds    // 000000002ABC: E0511100 8004001C
	buffer_load_dword v28, s[16:19], 0 offen offset:512 lds    // 000000002AC4: E0511200 8004001C
	s_add_u32 m0, m0, 0x300                                    // 000000002ACC: 807CFF7C 00000300
	v_add_u32_e32 v28, 0x900, v28                              // 000000002AD4: 683838FF 00000900
	s_cmp_eq_i32 s7, 2                                         // 000000002ADC: BF008207
	s_cbranch_scc0 label_020C                                  // 000000002AE0: BF840013
	ds_read_b128 a[0:3], v29 offset:24832                      // 000000002AE4: DBFE6100 0000001D
	ds_read_b128 a[4:7], v29 offset:24896                      // 000000002AEC: DBFE6140 0400001D
	ds_read_b128 a[8:11], v29 offset:24960                     // 000000002AF4: DBFE6180 0800001D
	ds_read_b128 a[12:15], v29 offset:25024                    // 000000002AFC: DBFE61C0 0C00001D
	ds_read_b128 a[16:19], v29 offset:25088                    // 000000002B04: DBFE6200 1000001D
	ds_read_b128 a[20:23], v29 offset:25152                    // 000000002B0C: DBFE6240 1400001D
	ds_read_b128 a[24:27], v29 offset:25216                    // 000000002B14: DBFE6280 1800001D
	ds_read_b128 a[28:31], v29 offset:25280                    // 000000002B1C: DBFE62C0 1C00001D
	ds_read_b128 a[32:35], v29 offset:25344                    // 000000002B24: DBFE6300 2000001D
	s_waitcnt lgkmcnt(0)                                       // 000000002B2C: BF8CC07F

0000000000002b30 <label_020C>:
	s_waitcnt vmcnt(12)                                        // 000000002B30: BF8C0F7C
	s_barrier                                                  // 000000002B34: BF8A0000
	s_mov_b32 m0, s36                                          // 000000002B38: BEFC0024
	v_add_u32_e32 v28, 0xb400, v30                             // 000000002B3C: 68383CFF 0000B400
	buffer_load_dword v28, s[16:19], 0 offen lds               // 000000002B44: E0511000 8004001C
	buffer_load_dword v28, s[16:19], 0 offen offset:256 lds    // 000000002B4C: E0511100 8004001C
	buffer_load_dword v28, s[16:19], 0 offen offset:512 lds    // 000000002B54: E0511200 8004001C
	s_add_u32 m0, m0, 0x300                                    // 000000002B5C: 807CFF7C 00000300
	v_add_u32_e32 v28, 0x900, v28                              // 000000002B64: 683838FF 00000900
	buffer_load_dword v28, s[16:19], 0 offen lds               // 000000002B6C: E0511000 8004001C
	buffer_load_dword v28, s[16:19], 0 offen offset:256 lds    // 000000002B74: E0511100 8004001C
	buffer_load_dword v28, s[16:19], 0 offen offset:512 lds    // 000000002B7C: E0511200 8004001C
	s_add_u32 m0, m0, 0x300                                    // 000000002B84: 807CFF7C 00000300
	v_add_u32_e32 v28, 0x900, v28                              // 000000002B8C: 683838FF 00000900
	buffer_load_dword v28, s[16:19], 0 offen lds               // 000000002B94: E0511000 8004001C
	buffer_load_dword v28, s[16:19], 0 offen offset:256 lds    // 000000002B9C: E0511100 8004001C
	buffer_load_dword v28, s[16:19], 0 offen offset:512 lds    // 000000002BA4: E0511200 8004001C
	s_add_u32 m0, m0, 0x300                                    // 000000002BAC: 807CFF7C 00000300
	v_add_u32_e32 v28, 0x900, v28                              // 000000002BB4: 683838FF 00000900
	buffer_load_dword v28, s[16:19], 0 offen lds               // 000000002BBC: E0511000 8004001C
	buffer_load_dword v28, s[16:19], 0 offen offset:256 lds    // 000000002BC4: E0511100 8004001C
	buffer_load_dword v28, s[16:19], 0 offen offset:512 lds    // 000000002BCC: E0511200 8004001C
	s_add_u32 m0, m0, 0x300                                    // 000000002BD4: 807CFF7C 00000300
	v_add_u32_e32 v28, 0x900, v28                              // 000000002BDC: 683838FF 00000900
	s_cmp_eq_i32 s7, 3                                         // 000000002BE4: BF008307
	s_cbranch_scc0 label_024E                                  // 000000002BE8: BF840013
	ds_read_b128 a[0:3], v29                                   // 000000002BEC: DBFE0000 0000001D
	ds_read_b128 a[4:7], v29 offset:64                         // 000000002BF4: DBFE0040 0400001D
	ds_read_b128 a[8:11], v29 offset:128                       // 000000002BFC: DBFE0080 0800001D
	ds_read_b128 a[12:15], v29 offset:192                      // 000000002C04: DBFE00C0 0C00001D
	ds_read_b128 a[16:19], v29 offset:256                      // 000000002C0C: DBFE0100 1000001D
	ds_read_b128 a[20:23], v29 offset:320                      // 000000002C14: DBFE0140 1400001D
	ds_read_b128 a[24:27], v29 offset:384                      // 000000002C1C: DBFE0180 1800001D
	ds_read_b128 a[28:31], v29 offset:448                      // 000000002C24: DBFE01C0 1C00001D
	ds_read_b128 a[32:35], v29 offset:512                      // 000000002C2C: DBFE0200 2000001D
	s_waitcnt lgkmcnt(0)                                       // 000000002C34: BF8CC07F

0000000000002c38 <label_024E>:
	s_waitcnt vmcnt(12)                                        // 000000002C38: BF8C0F7C
	s_barrier                                                  // 000000002C3C: BF8A0000
	s_mov_b32 m0, s34                                          // 000000002C40: BEFC0022
	v_add_u32_e32 v28, 0xd800, v30                             // 000000002C44: 68383CFF 0000D800
	buffer_load_dword v28, s[16:19], 0 offen lds               // 000000002C4C: E0511000 8004001C
	buffer_load_dword v28, s[16:19], 0 offen offset:256 lds    // 000000002C54: E0511100 8004001C
	buffer_load_dword v28, s[16:19], 0 offen offset:512 lds    // 000000002C5C: E0511200 8004001C
	s_add_u32 m0, m0, 0x300                                    // 000000002C64: 807CFF7C 00000300
	v_add_u32_e32 v28, 0x900, v28                              // 000000002C6C: 683838FF 00000900
	buffer_load_dword v28, s[16:19], 0 offen lds               // 000000002C74: E0511000 8004001C
	buffer_load_dword v28, s[16:19], 0 offen offset:256 lds    // 000000002C7C: E0511100 8004001C
	buffer_load_dword v28, s[16:19], 0 offen offset:512 lds    // 000000002C84: E0511200 8004001C
	s_add_u32 m0, m0, 0x300                                    // 000000002C8C: 807CFF7C 00000300
	v_add_u32_e32 v28, 0x900, v28                              // 000000002C94: 683838FF 00000900
	buffer_load_dword v28, s[16:19], 0 offen lds               // 000000002C9C: E0511000 8004001C
	buffer_load_dword v28, s[16:19], 0 offen offset:256 lds    // 000000002CA4: E0511100 8004001C
	buffer_load_dword v28, s[16:19], 0 offen offset:512 lds    // 000000002CAC: E0511200 8004001C
	s_add_u32 m0, m0, 0x300                                    // 000000002CB4: 807CFF7C 00000300
	v_add_u32_e32 v28, 0x900, v28                              // 000000002CBC: 683838FF 00000900
	buffer_load_dword v28, s[16:19], 0 offen lds               // 000000002CC4: E0511000 8004001C
	buffer_load_dword v28, s[16:19], 0 offen offset:256 lds    // 000000002CCC: E0511100 8004001C
	buffer_load_dword v28, s[16:19], 0 offen offset:512 lds    // 000000002CD4: E0511200 8004001C
	s_add_u32 m0, m0, 0x300                                    // 000000002CDC: 807CFF7C 00000300
	v_add_u32_e32 v28, 0x900, v28                              // 000000002CE4: 683838FF 00000900
	s_cmp_eq_i32 s7, 0                                         // 000000002CEC: BF008007
	s_cbranch_scc0 label_0290                                  // 000000002CF0: BF840013
	ds_read_b128 a[36:39], v29 offset:12416                    // 000000002CF4: DBFE3080 2400001D
	ds_read_b128 a[40:43], v29 offset:12480                    // 000000002CFC: DBFE30C0 2800001D
	ds_read_b128 a[44:47], v29 offset:12544                    // 000000002D04: DBFE3100 2C00001D
	ds_read_b128 a[48:51], v29 offset:12608                    // 000000002D0C: DBFE3140 3000001D
	ds_read_b128 a[52:55], v29 offset:12672                    // 000000002D14: DBFE3180 3400001D
	ds_read_b128 a[56:59], v29 offset:12736                    // 000000002D1C: DBFE31C0 3800001D
	ds_read_b128 a[60:63], v29 offset:12800                    // 000000002D24: DBFE3200 3C00001D
	ds_read_b128 a[64:67], v29 offset:12864                    // 000000002D2C: DBFE3240 4000001D
	ds_read_b128 a[68:71], v29 offset:12928                    // 000000002D34: DBFE3280 4400001D
	s_waitcnt lgkmcnt(0)                                       // 000000002D3C: BF8CC07F

0000000000002d40 <label_0290>:
	s_waitcnt vmcnt(12)                                        // 000000002D40: BF8C0F7C
	s_barrier                                                  // 000000002D44: BF8A0000
	s_mov_b32 m0, s35                                          // 000000002D48: BEFC0023
	v_add_u32_e32 v28, 0xfc00, v30                             // 000000002D4C: 68383CFF 0000FC00
	buffer_load_dword v28, s[16:19], 0 offen lds               // 000000002D54: E0511000 8004001C
	buffer_load_dword v28, s[16:19], 0 offen offset:256 lds    // 000000002D5C: E0511100 8004001C
	buffer_load_dword v28, s[16:19], 0 offen offset:512 lds    // 000000002D64: E0511200 8004001C
	s_add_u32 m0, m0, 0x300                                    // 000000002D6C: 807CFF7C 00000300
	v_add_u32_e32 v28, 0x900, v28                              // 000000002D74: 683838FF 00000900
	buffer_load_dword v28, s[16:19], 0 offen lds               // 000000002D7C: E0511000 8004001C
	buffer_load_dword v28, s[16:19], 0 offen offset:256 lds    // 000000002D84: E0511100 8004001C
	buffer_load_dword v28, s[16:19], 0 offen offset:512 lds    // 000000002D8C: E0511200 8004001C
	s_add_u32 m0, m0, 0x300                                    // 000000002D94: 807CFF7C 00000300
	v_add_u32_e32 v28, 0x900, v28                              // 000000002D9C: 683838FF 00000900
	buffer_load_dword v28, s[16:19], 0 offen lds               // 000000002DA4: E0511000 8004001C
	buffer_load_dword v28, s[16:19], 0 offen offset:256 lds    // 000000002DAC: E0511100 8004001C
	buffer_load_dword v28, s[16:19], 0 offen offset:512 lds    // 000000002DB4: E0511200 8004001C
	s_add_u32 m0, m0, 0x300                                    // 000000002DBC: 807CFF7C 00000300
	v_add_u32_e32 v28, 0x900, v28                              // 000000002DC4: 683838FF 00000900
	buffer_load_dword v28, s[16:19], 0 offen lds               // 000000002DCC: E0511000 8004001C
	buffer_load_dword v28, s[16:19], 0 offen offset:256 lds    // 000000002DD4: E0511100 8004001C
	buffer_load_dword v28, s[16:19], 0 offen offset:512 lds    // 000000002DDC: E0511200 8004001C
	s_add_u32 m0, m0, 0x300                                    // 000000002DE4: 807CFF7C 00000300
	v_add_u32_e32 v28, 0x900, v28                              // 000000002DEC: 683838FF 00000900
	s_cmp_eq_i32 s7, 1                                         // 000000002DF4: BF008107
	s_cbranch_scc0 label_02D2                                  // 000000002DF8: BF840013
	ds_read_b128 a[36:39], v29 offset:24832                    // 000000002DFC: DBFE6100 2400001D
	ds_read_b128 a[40:43], v29 offset:24896                    // 000000002E04: DBFE6140 2800001D
	ds_read_b128 a[44:47], v29 offset:24960                    // 000000002E0C: DBFE6180 2C00001D
	ds_read_b128 a[48:51], v29 offset:25024                    // 000000002E14: DBFE61C0 3000001D
	ds_read_b128 a[52:55], v29 offset:25088                    // 000000002E1C: DBFE6200 3400001D
	ds_read_b128 a[56:59], v29 offset:25152                    // 000000002E24: DBFE6240 3800001D
	ds_read_b128 a[60:63], v29 offset:25216                    // 000000002E2C: DBFE6280 3C00001D
	ds_read_b128 a[64:67], v29 offset:25280                    // 000000002E34: DBFE62C0 4000001D
	ds_read_b128 a[68:71], v29 offset:25344                    // 000000002E3C: DBFE6300 4400001D
	s_waitcnt lgkmcnt(0)                                       // 000000002E44: BF8CC07F

0000000000002e48 <label_02D2>:
	s_waitcnt vmcnt(12)                                        // 000000002E48: BF8C0F7C
	s_barrier                                                  // 000000002E4C: BF8A0000
	s_cmp_eq_i32 s7, 2                                         // 000000002E50: BF008207
	s_cbranch_scc0 label_02E9                                  // 000000002E54: BF840013
	ds_read_b128 a[36:39], v29                                 // 000000002E58: DBFE0000 2400001D
	ds_read_b128 a[40:43], v29 offset:64                       // 000000002E60: DBFE0040 2800001D
	ds_read_b128 a[44:47], v29 offset:128                      // 000000002E68: DBFE0080 2C00001D
	ds_read_b128 a[48:51], v29 offset:192                      // 000000002E70: DBFE00C0 3000001D
	ds_read_b128 a[52:55], v29 offset:256                      // 000000002E78: DBFE0100 3400001D
	ds_read_b128 a[56:59], v29 offset:320                      // 000000002E80: DBFE0140 3800001D
	ds_read_b128 a[60:63], v29 offset:384                      // 000000002E88: DBFE0180 3C00001D
	ds_read_b128 a[64:67], v29 offset:448                      // 000000002E90: DBFE01C0 4000001D
	ds_read_b128 a[68:71], v29 offset:512                      // 000000002E98: DBFE0200 4400001D
	s_waitcnt lgkmcnt(0)                                       // 000000002EA0: BF8CC07F

0000000000002ea4 <label_02E9>:
	s_waitcnt vmcnt(0)                                         // 000000002EA4: BF8C0F70
	s_barrier                                                  // 000000002EA8: BF8A0000
	s_cmp_eq_i32 s7, 3                                         // 000000002EAC: BF008307
	s_cbranch_scc0 label_0300                                  // 000000002EB0: BF840013
	ds_read_b128 a[36:39], v29 offset:12416                    // 000000002EB4: DBFE3080 2400001D
	ds_read_b128 a[40:43], v29 offset:12480                    // 000000002EBC: DBFE30C0 2800001D
	ds_read_b128 a[44:47], v29 offset:12544                    // 000000002EC4: DBFE3100 2C00001D
	ds_read_b128 a[48:51], v29 offset:12608                    // 000000002ECC: DBFE3140 3000001D
	ds_read_b128 a[52:55], v29 offset:12672                    // 000000002ED4: DBFE3180 3400001D
	ds_read_b128 a[56:59], v29 offset:12736                    // 000000002EDC: DBFE31C0 3800001D
	ds_read_b128 a[60:63], v29 offset:12800                    // 000000002EE4: DBFE3200 3C00001D
	ds_read_b128 a[64:67], v29 offset:12864                    // 000000002EEC: DBFE3240 4000001D
	ds_read_b128 a[68:71], v29 offset:12928                    // 000000002EF4: DBFE3280 4400001D
	s_waitcnt lgkmcnt(0)                                       // 000000002EFC: BF8CC07F

0000000000002f00 <label_0300>:
	s_waitcnt vmcnt(0)                                         // 000000002F00: BF8C0F70
	s_barrier                                                  // 000000002F04: BF8A0000
	s_mov_b32 s51, 0x7060302                                   // 000000002F08: BEB300FF 07060302
	s_mov_b32 s52, 0x6020400                                   // 000000002F10: BEB400FF 06020400
	s_mov_b32 s53, 0x7030501                                   // 000000002F18: BEB500FF 07030501
	s_mov_b32 s54, 0x5010400                                   // 000000002F20: BEB600FF 05010400
	s_mov_b32 s55, 0x7030602                                   // 000000002F28: BEB700FF 07030602
	s_mov_b32 s6, 0x3fb8aa3b                                   // 000000002F30: BE8600FF 3FB8AA3B
	v_mov_b32_e32 v21, s6                                      // 000000002F38: 7E2A0206
	v_mov_b32_e32 v20, s64                                     // 000000002F3C: 7E280240
	v_mul_f32_e32 v20, s6, v20                                 // 000000002F40: 0A282806
	v_rcp_f32_e32 v21, v21                                     // 000000002F44: 7E2A4515
	v_mov_b32_e32 v12, 0xff7fffff                              // 000000002F48: 7E1802FF FF7FFFFF
	v_mov_b32_e32 v13, 0xff7fffff                              // 000000002F50: 7E1A02FF FF7FFFFF
	v_mov_b32_e32 v16, 0                                       // 000000002F58: 7E200280
	v_mov_b32_e32 v17, 0                                       // 000000002F5C: 7E220280
	v_mov_b32_e32 v14, 0                                       // 000000002F60: 7E1C0280
	v_mov_b32_e32 v15, 0                                       // 000000002F64: 7E1E0280
	v_mov_b32_e32 v9, s68                                      // 000000002F68: 7E120244
	v_readfirstlane_b32 s5, v20                                // 000000002F6C: 7E0A0514
	v_readfirstlane_b32 s63, v21                               // 000000002F70: 7E7E0515
	v_mov_b32_e32 v20, s42                                     // 000000002F74: 7E28022A
	v_mul_f32_e32 v20, s43, v20                                // 000000002F78: 0A28282B
	v_mul_f32_e32 v21, s5, v20                                 // 000000002F7C: 0A2A2805
	v_mul_f32_e32 v23, s64, v20                                // 000000002F80: 0A2E2840
	v_readfirstlane_b32 s5, v21                                // 000000002F84: 7E0A0515
	v_readfirstlane_b32 s64, v23                               // 000000002F88: 7E800517
	v_and_b32_e32 v2, 15, v0                                   // 000000002F8C: 2604008F
	v_lshlrev_b32_e32 v2, 2, v2                                // 000000002F90: 24040482
	s_mul_i32 s56, 0x100, s7                                   // 000000002F94: 923807FF 00000100
	v_add_u32_e32 v2, s56, v2                                  // 000000002F9C: 68040438
	v_lshlrev_b32_e32 v3, 2, v0                                // 000000002FA0: 24060082
	s_mul_i32 s56, 0x100, s7                                   // 000000002FA4: 923807FF 00000100
	v_add_u32_e32 v3, s56, v3                                  // 000000002FAC: 68060638
	v_and_b32_e32 v20, 15, v0                                  // 000000002FB0: 2628008F
	v_lshlrev_b32_e32 v1, 2, v20                               // 000000002FB4: 24022882
	s_mul_i32 s34, s7, 0x1220                                  // 000000002FB8: 9222FF07 00001220
	s_add_u32 s34, 0, s34                                      // 000000002FC0: 80222280
	s_add_u32 s35, 0x900, s34                                  // 000000002FC4: 802322FF 00000900
	s_add_u32 s36, 0x4880, s34                                 // 000000002FCC: 802422FF 00004880
	s_add_u32 s37, 0x4880, s35                                 // 000000002FD4: 802523FF 00004880
	s_waitcnt vmcnt(0)                                         // 000000002FDC: BF8C0F70
	v_mul_u32_u24_dpp v18, v10, v9 row_newbcast:0 row_mask:0xf bank_mask:0xf// 000000002FE0: 102412FA FF01500A
	v_mul_u32_u24_dpp v19, v10, v9 row_newbcast:8 row_mask:0xf bank_mask:0xf// 000000002FE8: 102612FA FF01580A
	v_add_u32_e32 v18, v18, v1                                 // 000000002FF0: 68240312
	v_add_u32_e32 v19, v19, v1                                 // 000000002FF4: 68260313
	s_mov_b32 m0, s34                                          // 000000002FF8: BEFC0022
	buffer_load_dword v18, s[20:23], 0 offen lds               // 000000002FFC: E0511000 80050012
	s_add_u32 m0, 0, s35                                       // 000000003004: 807C2380
	buffer_load_dword v19, s[20:23], 0 offen lds               // 000000003008: E0511000 80050013
	s_add_u32 m0, 0xc0, s34                                    // 000000003010: 807C22FF 000000C0
	buffer_load_dword v18, s[20:23], 0 offen offset:64 lds     // 000000003018: E0511040 80050012
	s_add_u32 m0, 0xc0, s35                                    // 000000003020: 807C23FF 000000C0
	buffer_load_dword v19, s[20:23], 0 offen offset:64 lds     // 000000003028: E0511040 80050013
	s_add_u32 m0, 0x180, s34                                   // 000000003030: 807C22FF 00000180
	buffer_load_dword v18, s[20:23], 0 offen offset:128 lds    // 000000003038: E0511080 80050012
	s_add_u32 m0, 0x180, s35                                   // 000000003040: 807C23FF 00000180
	buffer_load_dword v19, s[20:23], 0 offen offset:128 lds    // 000000003048: E0511080 80050013
	s_add_u32 m0, 0x240, s34                                   // 000000003050: 807C22FF 00000240
	buffer_load_dword v18, s[20:23], 0 offen offset:192 lds    // 000000003058: E05110C0 80050012
	s_add_u32 m0, 0x240, s35                                   // 000000003060: 807C23FF 00000240
	buffer_load_dword v19, s[20:23], 0 offen offset:192 lds    // 000000003068: E05110C0 80050013
	s_add_u32 m0, 0x300, s34                                   // 000000003070: 807C22FF 00000300
	buffer_load_dword v18, s[20:23], 0 offen offset:256 lds    // 000000003078: E0511100 80050012
	s_add_u32 m0, 0x300, s35                                   // 000000003080: 807C23FF 00000300
	buffer_load_dword v19, s[20:23], 0 offen offset:256 lds    // 000000003088: E0511100 80050013
	s_add_u32 m0, 0x3c0, s34                                   // 000000003090: 807C22FF 000003C0
	buffer_load_dword v18, s[20:23], 0 offen offset:320 lds    // 000000003098: E0511140 80050012
	s_add_u32 m0, 0x3c0, s35                                   // 0000000030A0: 807C23FF 000003C0
	buffer_load_dword v19, s[20:23], 0 offen offset:320 lds    // 0000000030A8: E0511140 80050013
	s_add_u32 m0, 0x480, s34                                   // 0000000030B0: 807C22FF 00000480
	buffer_load_dword v18, s[20:23], 0 offen offset:384 lds    // 0000000030B8: E0511180 80050012
	s_add_u32 m0, 0x480, s35                                   // 0000000030C0: 807C23FF 00000480
	buffer_load_dword v19, s[20:23], 0 offen offset:384 lds    // 0000000030C8: E0511180 80050013
	s_add_u32 m0, 0x540, s34                                   // 0000000030D0: 807C22FF 00000540
	buffer_load_dword v18, s[20:23], 0 offen offset:448 lds    // 0000000030D8: E05111C0 80050012
	s_add_u32 m0, 0x540, s35                                   // 0000000030E0: 807C23FF 00000540
	buffer_load_dword v19, s[20:23], 0 offen offset:448 lds    // 0000000030E8: E05111C0 80050013
	s_add_u32 m0, 0x600, s34                                   // 0000000030F0: 807C22FF 00000600
	buffer_load_dword v18, s[20:23], 0 offen offset:512 lds    // 0000000030F8: E0511200 80050012
	s_add_u32 m0, 0x600, s35                                   // 000000003100: 807C23FF 00000600
	buffer_load_dword v19, s[20:23], 0 offen offset:512 lds    // 000000003108: E0511200 80050013
	s_add_u32 m0, 0x6c0, s34                                   // 000000003110: 807C22FF 000006C0
	buffer_load_dword v10, v8, s[24:27], 0 offen               // 000000003118: E0501000 80060A08
	v_add_u32_e32 v8, s73, v8                                  // 000000003120: 68101049
	v_mov_b32_e32 v56, 0                                       // 000000003124: 7E700280
	v_mov_b32_e32 v57, 0                                       // 000000003128: 7E720280
	v_mov_b32_e32 v58, 0                                       // 00000000312C: 7E740280
	v_mov_b32_e32 v59, 0                                       // 000000003130: 7E760280
	v_mov_b32_e32 v60, 0                                       // 000000003134: 7E780280
	v_mov_b32_e32 v61, 0                                       // 000000003138: 7E7A0280
	v_mov_b32_e32 v62, 0                                       // 00000000313C: 7E7C0280
	v_mov_b32_e32 v63, 0                                       // 000000003140: 7E7E0280
	v_mov_b32_e32 v64, 0                                       // 000000003144: 7E800280
	v_mov_b32_e32 v65, 0                                       // 000000003148: 7E820280
	v_mov_b32_e32 v66, 0                                       // 00000000314C: 7E840280
	v_mov_b32_e32 v67, 0                                       // 000000003150: 7E860280
	v_mov_b32_e32 v68, 0                                       // 000000003154: 7E880280
	v_mov_b32_e32 v69, 0                                       // 000000003158: 7E8A0280
	v_mov_b32_e32 v70, 0                                       // 00000000315C: 7E8C0280
	v_mov_b32_e32 v71, 0                                       // 000000003160: 7E8E0280
	v_mov_b32_e32 v72, 0                                       // 000000003164: 7E900280
	v_mov_b32_e32 v73, 0                                       // 000000003168: 7E920280
	v_mov_b32_e32 v74, 0                                       // 00000000316C: 7E940280
	v_mov_b32_e32 v75, 0                                       // 000000003170: 7E960280
	v_mov_b32_e32 v76, 0                                       // 000000003174: 7E980280
	v_mov_b32_e32 v77, 0                                       // 000000003178: 7E9A0280
	v_mov_b32_e32 v78, 0                                       // 00000000317C: 7E9C0280
	v_mov_b32_e32 v79, 0                                       // 000000003180: 7E9E0280
	v_mov_b32_e32 v80, 0                                       // 000000003184: 7EA00280
	v_mov_b32_e32 v81, 0                                       // 000000003188: 7EA20280
	v_mov_b32_e32 v82, 0                                       // 00000000318C: 7EA40280
	v_mov_b32_e32 v83, 0                                       // 000000003190: 7EA60280
	v_mov_b32_e32 v84, 0                                       // 000000003194: 7EA80280
	v_mov_b32_e32 v85, 0                                       // 000000003198: 7EAA0280
	v_mov_b32_e32 v86, 0                                       // 00000000319C: 7EAC0280
	v_mov_b32_e32 v87, 0                                       // 0000000031A0: 7EAE0280
	v_mov_b32_e32 v88, 0                                       // 0000000031A4: 7EB00280
	v_mov_b32_e32 v89, 0                                       // 0000000031A8: 7EB20280
	v_mov_b32_e32 v90, 0                                       // 0000000031AC: 7EB40280
	v_mov_b32_e32 v91, 0                                       // 0000000031B0: 7EB60280
	v_mov_b32_e32 v92, 0                                       // 0000000031B4: 7EB80280
	v_mov_b32_e32 v93, 0                                       // 0000000031B8: 7EBA0280
	v_mov_b32_e32 v94, 0                                       // 0000000031BC: 7EBC0280
	v_mov_b32_e32 v95, 0                                       // 0000000031C0: 7EBE0280
	v_mov_b32_e32 v96, 0                                       // 0000000031C4: 7EC00280
	v_mov_b32_e32 v97, 0                                       // 0000000031C8: 7EC20280
	v_mov_b32_e32 v98, 0                                       // 0000000031CC: 7EC40280
	v_mov_b32_e32 v99, 0                                       // 0000000031D0: 7EC60280
	v_mov_b32_e32 v100, 0                                      // 0000000031D4: 7EC80280
	v_mov_b32_e32 v101, 0                                      // 0000000031D8: 7ECA0280
	v_mov_b32_e32 v102, 0                                      // 0000000031DC: 7ECC0280
	v_mov_b32_e32 v103, 0                                      // 0000000031E0: 7ECE0280
	v_mov_b32_e32 v104, 0                                      // 0000000031E4: 7ED00280
	v_mov_b32_e32 v105, 0                                      // 0000000031E8: 7ED20280
	v_mov_b32_e32 v106, 0                                      // 0000000031EC: 7ED40280
	v_mov_b32_e32 v107, 0                                      // 0000000031F0: 7ED60280
	v_mov_b32_e32 v108, 0                                      // 0000000031F4: 7ED80280
	v_mov_b32_e32 v109, 0                                      // 0000000031F8: 7EDA0280
	v_mov_b32_e32 v110, 0                                      // 0000000031FC: 7EDC0280
	v_mov_b32_e32 v111, 0                                      // 000000003200: 7EDE0280
	v_mov_b32_e32 v112, 0                                      // 000000003204: 7EE00280
	v_mov_b32_e32 v113, 0                                      // 000000003208: 7EE20280
	v_mov_b32_e32 v114, 0                                      // 00000000320C: 7EE40280
	v_mov_b32_e32 v115, 0                                      // 000000003210: 7EE60280
	v_mov_b32_e32 v116, 0                                      // 000000003214: 7EE80280
	v_mov_b32_e32 v117, 0                                      // 000000003218: 7EEA0280
	v_mov_b32_e32 v118, 0                                      // 00000000321C: 7EEC0280
	v_mov_b32_e32 v119, 0                                      // 000000003220: 7EEE0280
	v_mov_b32_e32 v120, 0                                      // 000000003224: 7EF00280
	v_mov_b32_e32 v121, 0                                      // 000000003228: 7EF20280
	v_mov_b32_e32 v122, 0                                      // 00000000322C: 7EF40280
	v_mov_b32_e32 v123, 0                                      // 000000003230: 7EF60280
	v_mov_b32_e32 v124, 0                                      // 000000003234: 7EF80280
	v_mov_b32_e32 v125, 0                                      // 000000003238: 7EFA0280
	v_mov_b32_e32 v126, 0                                      // 00000000323C: 7EFC0280
	v_mov_b32_e32 v127, 0                                      // 000000003240: 7EFE0280
	v_mov_b32_e32 v128, 0                                      // 000000003244: 7F000280
	v_mov_b32_e32 v129, 0                                      // 000000003248: 7F020280
	v_mov_b32_e32 v130, 0                                      // 00000000324C: 7F040280
	v_mov_b32_e32 v131, 0                                      // 000000003250: 7F060280
	v_mov_b32_e32 v132, 0                                      // 000000003254: 7F080280
	v_mov_b32_e32 v133, 0                                      // 000000003258: 7F0A0280
	v_mov_b32_e32 v134, 0                                      // 00000000325C: 7F0C0280
	v_mov_b32_e32 v135, 0                                      // 000000003260: 7F0E0280
	v_mov_b32_e32 v136, 0                                      // 000000003264: 7F100280
	v_mov_b32_e32 v137, 0                                      // 000000003268: 7F120280
	v_mov_b32_e32 v138, 0                                      // 00000000326C: 7F140280
	v_mov_b32_e32 v139, 0                                      // 000000003270: 7F160280
	v_mov_b32_e32 v140, 0                                      // 000000003274: 7F180280
	v_mov_b32_e32 v141, 0                                      // 000000003278: 7F1A0280
	v_mov_b32_e32 v142, 0                                      // 00000000327C: 7F1C0280
	v_mov_b32_e32 v143, 0                                      // 000000003280: 7F1E0280
	v_mov_b32_e32 v144, 0                                      // 000000003284: 7F200280
	v_mov_b32_e32 v145, 0                                      // 000000003288: 7F220280
	v_mov_b32_e32 v146, 0                                      // 00000000328C: 7F240280
	v_mov_b32_e32 v147, 0                                      // 000000003290: 7F260280
	v_mov_b32_e32 v148, 0                                      // 000000003294: 7F280280
	v_mov_b32_e32 v149, 0                                      // 000000003298: 7F2A0280
	v_mov_b32_e32 v150, 0                                      // 00000000329C: 7F2C0280
	v_mov_b32_e32 v151, 0                                      // 0000000032A0: 7F2E0280
	v_mov_b32_e32 v152, 0                                      // 0000000032A4: 7F300280
	v_mov_b32_e32 v153, 0                                      // 0000000032A8: 7F320280
	v_mov_b32_e32 v154, 0                                      // 0000000032AC: 7F340280
	v_mov_b32_e32 v155, 0                                      // 0000000032B0: 7F360280
	v_mov_b32_e32 v156, 0                                      // 0000000032B4: 7F380280
	v_mov_b32_e32 v157, 0                                      // 0000000032B8: 7F3A0280
	v_mov_b32_e32 v158, 0                                      // 0000000032BC: 7F3C0280
	v_mov_b32_e32 v159, 0                                      // 0000000032C0: 7F3E0280
	v_mov_b32_e32 v160, 0                                      // 0000000032C4: 7F400280
	v_mov_b32_e32 v161, 0                                      // 0000000032C8: 7F420280
	v_mov_b32_e32 v162, 0                                      // 0000000032CC: 7F440280
	v_mov_b32_e32 v163, 0                                      // 0000000032D0: 7F460280
	v_mov_b32_e32 v164, 0                                      // 0000000032D4: 7F480280
	v_mov_b32_e32 v165, 0                                      // 0000000032D8: 7F4A0280
	v_mov_b32_e32 v166, 0                                      // 0000000032DC: 7F4C0280
	v_mov_b32_e32 v167, 0                                      // 0000000032E0: 7F4E0280
	v_mov_b32_e32 v168, 0                                      // 0000000032E4: 7F500280
	v_mov_b32_e32 v169, 0                                      // 0000000032E8: 7F520280
	v_mov_b32_e32 v170, 0                                      // 0000000032EC: 7F540280
	v_mov_b32_e32 v171, 0                                      // 0000000032F0: 7F560280
	v_mov_b32_e32 v172, 0                                      // 0000000032F4: 7F580280
	v_mov_b32_e32 v173, 0                                      // 0000000032F8: 7F5A0280
	v_mov_b32_e32 v174, 0                                      // 0000000032FC: 7F5C0280
	v_mov_b32_e32 v175, 0                                      // 000000003300: 7F5E0280
	v_mov_b32_e32 v176, 0                                      // 000000003304: 7F600280
	v_mov_b32_e32 v177, 0                                      // 000000003308: 7F620280
	v_mov_b32_e32 v178, 0                                      // 00000000330C: 7F640280
	v_mov_b32_e32 v179, 0                                      // 000000003310: 7F660280
	v_mov_b32_e32 v180, 0                                      // 000000003314: 7F680280
	v_mov_b32_e32 v181, 0                                      // 000000003318: 7F6A0280
	v_mov_b32_e32 v182, 0                                      // 00000000331C: 7F6C0280
	v_mov_b32_e32 v183, 0                                      // 000000003320: 7F6E0280
	v_mov_b32_e32 v184, 0                                      // 000000003324: 7F700280
	v_mov_b32_e32 v185, 0                                      // 000000003328: 7F720280
	v_mov_b32_e32 v186, 0                                      // 00000000332C: 7F740280
	v_mov_b32_e32 v187, 0                                      // 000000003330: 7F760280
	v_mov_b32_e32 v188, 0                                      // 000000003334: 7F780280
	v_mov_b32_e32 v189, 0                                      // 000000003338: 7F7A0280
	v_mov_b32_e32 v190, 0                                      // 00000000333C: 7F7C0280
	v_mov_b32_e32 v191, 0                                      // 000000003340: 7F7E0280
	v_mov_b32_e32 v192, 0                                      // 000000003344: 7F800280
	v_mov_b32_e32 v193, 0                                      // 000000003348: 7F820280
	v_mov_b32_e32 v194, 0                                      // 00000000334C: 7F840280
	v_mov_b32_e32 v195, 0                                      // 000000003350: 7F860280
	v_mov_b32_e32 v196, 0                                      // 000000003354: 7F880280
	v_mov_b32_e32 v197, 0                                      // 000000003358: 7F8A0280
	v_mov_b32_e32 v198, 0                                      // 00000000335C: 7F8C0280
	v_mov_b32_e32 v199, 0                                      // 000000003360: 7F8E0280
	v_mov_b32_e32 v200, 0                                      // 000000003364: 7F900280
	v_mov_b32_e32 v201, 0                                      // 000000003368: 7F920280
	v_mov_b32_e32 v202, 0                                      // 00000000336C: 7F940280
	v_mov_b32_e32 v203, 0                                      // 000000003370: 7F960280
	v_mov_b32_e32 v204, 0                                      // 000000003374: 7F980280
	v_mov_b32_e32 v205, 0                                      // 000000003378: 7F9A0280
	v_mov_b32_e32 v206, 0                                      // 00000000337C: 7F9C0280
	v_mov_b32_e32 v207, 0                                      // 000000003380: 7F9E0280
	v_mov_b32_e32 v208, 0                                      // 000000003384: 7FA00280
	v_mov_b32_e32 v209, 0                                      // 000000003388: 7FA20280
	v_mov_b32_e32 v210, 0                                      // 00000000338C: 7FA40280
	v_mov_b32_e32 v211, 0                                      // 000000003390: 7FA60280
	v_mov_b32_e32 v212, 0                                      // 000000003394: 7FA80280
	v_mov_b32_e32 v213, 0                                      // 000000003398: 7FAA0280
	v_mov_b32_e32 v214, 0                                      // 00000000339C: 7FAC0280
	v_mov_b32_e32 v215, 0                                      // 0000000033A0: 7FAE0280
	v_mov_b32_e32 v216, 0                                      // 0000000033A4: 7FB00280
	v_mov_b32_e32 v217, 0                                      // 0000000033A8: 7FB20280
	v_mov_b32_e32 v218, 0                                      // 0000000033AC: 7FB40280
	v_mov_b32_e32 v219, 0                                      // 0000000033B0: 7FB60280
	v_mov_b32_e32 v220, 0                                      // 0000000033B4: 7FB80280
	v_mov_b32_e32 v221, 0                                      // 0000000033B8: 7FBA0280
	v_mov_b32_e32 v222, 0                                      // 0000000033BC: 7FBC0280
	v_mov_b32_e32 v223, 0                                      // 0000000033C0: 7FBE0280
	v_mov_b32_e32 v224, 0                                      // 0000000033C4: 7FC00280
	v_mov_b32_e32 v225, 0                                      // 0000000033C8: 7FC20280
	v_mov_b32_e32 v226, 0                                      // 0000000033CC: 7FC40280
	v_mov_b32_e32 v227, 0                                      // 0000000033D0: 7FC60280
	v_mov_b32_e32 v228, 0                                      // 0000000033D4: 7FC80280
	v_mov_b32_e32 v229, 0                                      // 0000000033D8: 7FCA0280
	v_mov_b32_e32 v230, 0                                      // 0000000033DC: 7FCC0280
	v_mov_b32_e32 v231, 0                                      // 0000000033E0: 7FCE0280
	v_mov_b32_e32 v232, 0                                      // 0000000033E4: 7FD00280
	v_mov_b32_e32 v233, 0                                      // 0000000033E8: 7FD20280
	v_mov_b32_e32 v234, 0                                      // 0000000033EC: 7FD40280
	v_mov_b32_e32 v235, 0                                      // 0000000033F0: 7FD60280
	v_mov_b32_e32 v236, 0                                      // 0000000033F4: 7FD80280
	v_mov_b32_e32 v237, 0                                      // 0000000033F8: 7FDA0280
	v_mov_b32_e32 v238, 0                                      // 0000000033FC: 7FDC0280
	v_mov_b32_e32 v239, 0                                      // 000000003400: 7FDE0280
	v_mov_b32_e32 v240, 0                                      // 000000003404: 7FE00280
	v_mov_b32_e32 v241, 0                                      // 000000003408: 7FE20280
	v_mov_b32_e32 v242, 0                                      // 00000000340C: 7FE40280
	v_mov_b32_e32 v243, 0                                      // 000000003410: 7FE60280
	v_mov_b32_e32 v244, 0                                      // 000000003414: 7FE80280
	v_mov_b32_e32 v245, 0                                      // 000000003418: 7FEA0280
	v_mov_b32_e32 v246, 0                                      // 00000000341C: 7FEC0280
	v_mov_b32_e32 v247, 0                                      // 000000003420: 7FEE0280
	v_mov_b32_e32 v248, 0                                      // 000000003424: 7FF00280
	v_mov_b32_e32 v249, 0                                      // 000000003428: 7FF20280
	v_mov_b32_e32 v250, 0                                      // 00000000342C: 7FF40280
	v_mov_b32_e32 v251, 0                                      // 000000003430: 7FF60280
	v_mov_b32_e32 v252, 0                                      // 000000003434: 7FF80280
	v_mov_b32_e32 v253, 0                                      // 000000003438: 7FFA0280
	v_mov_b32_e32 v254, 0                                      // 00000000343C: 7FFC0280
	v_mov_b32_e32 v255, 0                                      // 000000003440: 7FFE0280
	v_accvgpr_write_b32 a144, 0                                // 000000003444: D3D94090 18000080
	v_accvgpr_write_b32 a145, 0                                // 00000000344C: D3D94091 18000080
	v_accvgpr_write_b32 a146, 0                                // 000000003454: D3D94092 18000080
	v_accvgpr_write_b32 a147, 0                                // 00000000345C: D3D94093 18000080
	v_accvgpr_write_b32 a148, 0                                // 000000003464: D3D94094 18000080
	v_accvgpr_write_b32 a149, 0                                // 00000000346C: D3D94095 18000080
	v_accvgpr_write_b32 a150, 0                                // 000000003474: D3D94096 18000080
	v_accvgpr_write_b32 a151, 0                                // 00000000347C: D3D94097 18000080
	v_accvgpr_write_b32 a152, 0                                // 000000003484: D3D94098 18000080
	v_accvgpr_write_b32 a153, 0                                // 00000000348C: D3D94099 18000080
	v_accvgpr_write_b32 a154, 0                                // 000000003494: D3D9409A 18000080
	v_accvgpr_write_b32 a155, 0                                // 00000000349C: D3D9409B 18000080
	v_accvgpr_write_b32 a156, 0                                // 0000000034A4: D3D9409C 18000080
	v_accvgpr_write_b32 a157, 0                                // 0000000034AC: D3D9409D 18000080
	v_accvgpr_write_b32 a158, 0                                // 0000000034B4: D3D9409E 18000080
	v_accvgpr_write_b32 a159, 0                                // 0000000034BC: D3D9409F 18000080
	v_accvgpr_write_b32 a160, 0                                // 0000000034C4: D3D940A0 18000080
	v_accvgpr_write_b32 a161, 0                                // 0000000034CC: D3D940A1 18000080
	v_accvgpr_write_b32 a162, 0                                // 0000000034D4: D3D940A2 18000080
	v_accvgpr_write_b32 a163, 0                                // 0000000034DC: D3D940A3 18000080
	v_accvgpr_write_b32 a164, 0                                // 0000000034E4: D3D940A4 18000080
	v_accvgpr_write_b32 a165, 0                                // 0000000034EC: D3D940A5 18000080
	v_accvgpr_write_b32 a166, 0                                // 0000000034F4: D3D940A6 18000080
	v_accvgpr_write_b32 a167, 0                                // 0000000034FC: D3D940A7 18000080
	v_accvgpr_write_b32 a168, 0                                // 000000003504: D3D940A8 18000080
	v_accvgpr_write_b32 a169, 0                                // 00000000350C: D3D940A9 18000080
	v_accvgpr_write_b32 a170, 0                                // 000000003514: D3D940AA 18000080
	v_accvgpr_write_b32 a171, 0                                // 00000000351C: D3D940AB 18000080
	v_accvgpr_write_b32 a172, 0                                // 000000003524: D3D940AC 18000080
	v_accvgpr_write_b32 a173, 0                                // 00000000352C: D3D940AD 18000080
	v_accvgpr_write_b32 a174, 0                                // 000000003534: D3D940AE 18000080
	v_accvgpr_write_b32 a175, 0                                // 00000000353C: D3D940AF 18000080
	v_accvgpr_write_b32 a176, 0                                // 000000003544: D3D940B0 18000080
	v_accvgpr_write_b32 a177, 0                                // 00000000354C: D3D940B1 18000080
	v_accvgpr_write_b32 a178, 0                                // 000000003554: D3D940B2 18000080
	v_accvgpr_write_b32 a179, 0                                // 00000000355C: D3D940B3 18000080
	v_accvgpr_write_b32 a180, 0                                // 000000003564: D3D940B4 18000080
	v_accvgpr_write_b32 a181, 0                                // 00000000356C: D3D940B5 18000080
	v_accvgpr_write_b32 a182, 0                                // 000000003574: D3D940B6 18000080
	v_accvgpr_write_b32 a183, 0                                // 00000000357C: D3D940B7 18000080
	v_accvgpr_write_b32 a184, 0                                // 000000003584: D3D940B8 18000080
	v_accvgpr_write_b32 a185, 0                                // 00000000358C: D3D940B9 18000080
	v_accvgpr_write_b32 a186, 0                                // 000000003594: D3D940BA 18000080
	v_accvgpr_write_b32 a187, 0                                // 00000000359C: D3D940BB 18000080
	v_accvgpr_write_b32 a188, 0                                // 0000000035A4: D3D940BC 18000080
	v_accvgpr_write_b32 a189, 0                                // 0000000035AC: D3D940BD 18000080
	v_accvgpr_write_b32 a190, 0                                // 0000000035B4: D3D940BE 18000080
	v_accvgpr_write_b32 a191, 0                                // 0000000035BC: D3D940BF 18000080
	v_accvgpr_write_b32 a192, 0                                // 0000000035C4: D3D940C0 18000080
	v_accvgpr_write_b32 a193, 0                                // 0000000035CC: D3D940C1 18000080
	v_accvgpr_write_b32 a194, 0                                // 0000000035D4: D3D940C2 18000080
	v_accvgpr_write_b32 a195, 0                                // 0000000035DC: D3D940C3 18000080
	v_accvgpr_write_b32 a196, 0                                // 0000000035E4: D3D940C4 18000080
	v_accvgpr_write_b32 a197, 0                                // 0000000035EC: D3D940C5 18000080
	v_accvgpr_write_b32 a198, 0                                // 0000000035F4: D3D940C6 18000080
	v_accvgpr_write_b32 a199, 0                                // 0000000035FC: D3D940C7 18000080
	v_lshrrev_b32_e32 v20, 4, v0                               // 000000003604: 20280084
	v_mul_i32_i24_e32 v21, 4, v20                              // 000000003608: 0C2A2884
	v_and_b32_e32 v20, 15, v0                                  // 00000000360C: 2628008F
	v_and_b32_e32 v22, 3, v20                                  // 000000003610: 262C2883
	v_mul_i32_i24_e32 v22, 0x488, v22                          // 000000003614: 0C2C2CFF 00000488
	v_add_u32_e32 v4, v22, v21                                 // 00000000361C: 68082B16
	v_lshrrev_b32_e32 v20, 2, v20                              // 000000003620: 20282882
	v_and_b32_e32 v21, 1, v20                                  // 000000003624: 262A2881
	v_mul_i32_i24_e32 v21, 16, v21                             // 000000003628: 0C2A2A90
	v_add_u32_e32 v4, v4, v21                                  // 00000000362C: 68082B04
	v_and_b32_e32 v21, 2, v20                                  // 000000003630: 262A2882
	v_mul_i32_i24_e32 v21, 0x120, v21                          // 000000003634: 0C2A2AFF 00000120
	v_add_u32_e32 v4, v4, v21                                  // 00000000363C: 68082B04
	v_lshlrev_b32_e32 v4, 2, v4                                // 000000003640: 24080882
	v_lshrrev_b32_e32 v20, 5, v0                               // 000000003644: 20280085
	v_mul_i32_i24_e32 v5, 0x240, v20                           // 000000003648: 0C0A28FF 00000240
	v_and_b32_e32 v20, 31, v0                                  // 000000003650: 2628009F
	v_add_u32_e32 v5, v20, v5                                  // 000000003654: 680A0B14
	s_mul_i32 s56, 64, s7                                      // 000000003658: 923807C0
	v_add_u32_e64 v5, v5, s56                                  // 00000000365C: D1340005 00007105
	v_lshlrev_b32_e32 v5, 2, v5                                // 000000003664: 240A0A82
	v_lshlrev_b32_e32 v6, 2, v0                                // 000000003668: 240C0082
	s_mul_i32 s56, 0x200, s7                                   // 00000000366C: 923807FF 00000200
	v_add_u32_e64 v6, v6, s56                                  // 000000003674: D1340006 00007106
	v_lshlrev_b32_e32 v6, 2, v6                                // 00000000367C: 240C0C82
	v_lshlrev_b32_e32 v7, 4, v0                                // 000000003680: 240E0084
	v_mul_u32_u24_dpp v18, v11, v9 row_newbcast:0 row_mask:0xf bank_mask:0xf// 000000003684: 102412FA FF01500B
	v_mul_u32_u24_dpp v19, v11, v9 row_newbcast:8 row_mask:0xf bank_mask:0xf// 00000000368C: 102612FA FF01580B
	v_add_u32_e32 v18, v18, v1                                 // 000000003694: 68240312
	v_add_u32_e32 v19, v19, v1                                 // 000000003698: 68260313
	s_mov_b32 m0, s36                                          // 00000000369C: BEFC0024
	buffer_load_dword v11, v8, s[24:27], 0 offen               // 0000000036A0: E0501000 80060B08
	v_add_u32_e32 v8, s73, v8                                  // 0000000036A8: 68101049
	buffer_load_dword v18, s[20:23], 0 offen lds               // 0000000036AC: E0511000 80050012
	s_add_u32 m0, 0, s37                                       // 0000000036B4: 807C2580
	buffer_load_dword v19, s[20:23], 0 offen lds               // 0000000036B8: E0511000 80050013
	s_add_u32 m0, 0xc0, s36                                    // 0000000036C0: 807C24FF 000000C0
	buffer_load_dword v18, s[20:23], 0 offen offset:64 lds     // 0000000036C8: E0511040 80050012
	s_add_u32 m0, 0xc0, s37                                    // 0000000036D0: 807C25FF 000000C0
	buffer_load_dword v19, s[20:23], 0 offen offset:64 lds     // 0000000036D8: E0511040 80050013
	s_add_u32 m0, 0x180, s36                                   // 0000000036E0: 807C24FF 00000180
	buffer_load_dword v18, s[20:23], 0 offen offset:128 lds    // 0000000036E8: E0511080 80050012
	s_add_u32 m0, 0x180, s37                                   // 0000000036F0: 807C25FF 00000180
	buffer_load_dword v19, s[20:23], 0 offen offset:128 lds    // 0000000036F8: E0511080 80050013
	s_add_u32 m0, 0x240, s36                                   // 000000003700: 807C24FF 00000240
	buffer_load_dword v18, s[20:23], 0 offen offset:192 lds    // 000000003708: E05110C0 80050012
	s_add_u32 m0, 0x240, s37                                   // 000000003710: 807C25FF 00000240
	buffer_load_dword v19, s[20:23], 0 offen offset:192 lds    // 000000003718: E05110C0 80050013
	s_add_u32 m0, 0x300, s36                                   // 000000003720: 807C24FF 00000300
	buffer_load_dword v18, s[20:23], 0 offen offset:256 lds    // 000000003728: E0511100 80050012
	s_add_u32 m0, 0x300, s37                                   // 000000003730: 807C25FF 00000300
	buffer_load_dword v19, s[20:23], 0 offen offset:256 lds    // 000000003738: E0511100 80050013
	s_add_u32 m0, 0x3c0, s36                                   // 000000003740: 807C24FF 000003C0
	buffer_load_dword v18, s[20:23], 0 offen offset:320 lds    // 000000003748: E0511140 80050012
	s_add_u32 m0, 0x3c0, s37                                   // 000000003750: 807C25FF 000003C0
	buffer_load_dword v19, s[20:23], 0 offen offset:320 lds    // 000000003758: E0511140 80050013
	s_add_u32 m0, 0x480, s36                                   // 000000003760: 807C24FF 00000480
	buffer_load_dword v18, s[20:23], 0 offen offset:384 lds    // 000000003768: E0511180 80050012
	s_add_u32 m0, 0x480, s37                                   // 000000003770: 807C25FF 00000480
	buffer_load_dword v19, s[20:23], 0 offen offset:384 lds    // 000000003778: E0511180 80050013
	s_add_u32 m0, 0x540, s36                                   // 000000003780: 807C24FF 00000540
	buffer_load_dword v18, s[20:23], 0 offen offset:448 lds    // 000000003788: E05111C0 80050012
	s_add_u32 m0, 0x540, s37                                   // 000000003790: 807C25FF 00000540
	buffer_load_dword v19, s[20:23], 0 offen offset:448 lds    // 000000003798: E05111C0 80050013
	s_add_u32 m0, 0x600, s36                                   // 0000000037A0: 807C24FF 00000600
	buffer_load_dword v18, s[20:23], 0 offen offset:512 lds    // 0000000037A8: E0511200 80050012
	s_add_u32 m0, 0x600, s37                                   // 0000000037B0: 807C25FF 00000600
	buffer_load_dword v19, s[20:23], 0 offen offset:512 lds    // 0000000037B8: E0511200 80050013
	s_add_u32 m0, 0x6c0, s36                                   // 0000000037C0: 807C24FF 000006C0
	s_waitcnt vmcnt(19) lgkmcnt(0)                             // 0000000037C8: BF8C4073
	s_barrier                                                  // 0000000037CC: BF8A0000
	v_mul_u32_u24_dpp v18, v10, v9 row_newbcast:0 row_mask:0xf bank_mask:0xf// 0000000037D0: 102412FA FF01500A
	v_mul_u32_u24_dpp v19, v10, v9 row_newbcast:8 row_mask:0xf bank_mask:0xf// 0000000037D8: 102612FA FF01580A
	v_add_u32_e32 v18, v18, v1                                 // 0000000037E0: 68240312
	v_add_u32_e32 v19, v19, v1                                 // 0000000037E4: 68260313
	s_mov_b32 m0, s34                                          // 0000000037E8: BEFC0022
	ds_read_b32 v20, v5                                        // 0000000037EC: D86C0000 14000005
	ds_read_b32 v21, v5 offset:4640                            // 0000000037F4: D86C1220 15000005
	ds_read_b32 v22, v5 offset:9280                            // 0000000037FC: D86C2440 16000005
	ds_read_b32 v23, v5 offset:13920                           // 000000003804: D86C3660 17000005
	ds_read_b32 v24, v5 offset:128                             // 00000000380C: D86C0080 18000005
	ds_read_b32 v25, v5 offset:4768                            // 000000003814: D86C12A0 19000005
	ds_read_b32 v26, v5 offset:9408                            // 00000000381C: D86C24C0 1A000005
	ds_read_b32 v27, v5 offset:14048                           // 000000003824: D86C36E0 1B000005
	s_waitcnt lgkmcnt(0)                                       // 00000000382C: BF8CC07F
	v_perm_b32 v32, v22, v20, s52                              // 000000003830: D1ED0020 00D22916
	v_perm_b32 v33, v22, v20, s53                              // 000000003838: D1ED0021 00D62916
	v_perm_b32 v34, v23, v21, s52                              // 000000003840: D1ED0022 00D22B17
	v_perm_b32 v35, v23, v21, s53                              // 000000003848: D1ED0023 00D62B17
	v_perm_b32 v28, v34, v32, s54                              // 000000003850: D1ED001C 00DA4122
	v_perm_b32 v36, v34, v32, s55                              // 000000003858: D1ED0024 00DE4122
	v_perm_b32 v30, v35, v33, s54                              // 000000003860: D1ED001E 00DA4323
	v_perm_b32 v38, v35, v33, s55                              // 000000003868: D1ED0026 00DE4323
	v_perm_b32 v32, v26, v24, s52                              // 000000003870: D1ED0020 00D2311A
	v_perm_b32 v33, v26, v24, s53                              // 000000003878: D1ED0021 00D6311A
	v_perm_b32 v34, v27, v25, s52                              // 000000003880: D1ED0022 00D2331B
	v_perm_b32 v35, v27, v25, s53                              // 000000003888: D1ED0023 00D6331B
	v_perm_b32 v29, v34, v32, s54                              // 000000003890: D1ED001D 00DA4122
	v_perm_b32 v37, v34, v32, s55                              // 000000003898: D1ED0025 00DE4122
	v_perm_b32 v31, v35, v33, s54                              // 0000000038A0: D1ED001F 00DA4323
	v_perm_b32 v39, v35, v33, s55                              // 0000000038A8: D1ED0027 00DE4323
	ds_write_b128 v6, v[28:31] offset:37120                    // 0000000038B0: D9BE9100 00001C06
	ds_write_b128 v6, v[36:39] offset:38144                    // 0000000038B8: D9BE9500 00002406
	ds_read_b32 v20, v5 offset:1024                            // 0000000038C0: D86C0400 14000005
	ds_read_b32 v21, v5 offset:5664                            // 0000000038C8: D86C1620 15000005
	ds_read_b32 v22, v5 offset:10304                           // 0000000038D0: D86C2840 16000005
	ds_read_b32 v23, v5 offset:14944                           // 0000000038D8: D86C3A60 17000005
	ds_read_b32 v24, v5 offset:1152                            // 0000000038E0: D86C0480 18000005
	ds_read_b32 v25, v5 offset:5792                            // 0000000038E8: D86C16A0 19000005
	ds_read_b32 v26, v5 offset:10432                           // 0000000038F0: D86C28C0 1A000005
	ds_read_b32 v27, v5 offset:15072                           // 0000000038F8: D86C3AE0 1B000005
	ds_read_b128 a[72:75], v4                                  // 000000003900: DBFE0000 48000004
	ds_read_b128 a[76:79], v4 offset:256                       // 000000003908: DBFE0100 4C000004
	ds_read_b128 a[80:83], v4 offset:512                       // 000000003910: DBFE0200 50000004
	ds_read_b128 a[84:87], v4 offset:768                       // 000000003918: DBFE0300 54000004
	ds_read_b128 a[88:91], v4 offset:1024                      // 000000003920: DBFE0400 58000004
	ds_read_b128 a[92:95], v4 offset:1280                      // 000000003928: DBFE0500 5C000004
	ds_read_b128 a[96:99], v4 offset:1536                      // 000000003930: DBFE0600 60000004
	ds_read_b128 a[100:103], v4 offset:1792                    // 000000003938: DBFE0700 64000004
	s_nop 0                                                    // 000000003940: BF800000
	s_cmp_lt_u32 s71, 1                                        // 000000003944: BF0A8147
	s_cbranch_scc1 label_181C                                  // 000000003948: BF851289
	s_cmp_lt_i32 s7, 2                                         // 00000000394C: BF048207
	s_cbranch_scc0 label_0ED9                                  // 000000003950: BF840944

0000000000003954 <label_0595>:
	s_waitcnt lgkmcnt(4)                                       // 000000003954: BF8CC47F
	v_mfma_f32_16x16x32_fp8_fp8 v[40:43], a[72:73], a[0:1], 0  // 000000003958: D3F30028 1A020148
	ds_read_b128 a[104:107], v4 offset:2048                    // 000000003960: DBFE0800 68000004
	ds_read_b128 a[108:111], v4 offset:128                     // 000000003968: DBFE0080 6C000004
	v_mfma_f32_16x16x32_fp8_fp8 v[40:43], a[74:75], a[2:3], v[40:43]// 000000003970: D3F30028 1CA2054A
	buffer_load_dword v10, v8, s[24:27], 0 offen               // 000000003978: E0501000 80060A08
	v_mfma_f32_16x16x32_fp8_fp8 v[40:43], a[76:77], a[4:5], v[40:43]// 000000003980: D3F30028 1CA2094C
	v_mfma_f32_16x16x32_fp8_fp8 v[40:43], a[78:79], a[6:7], v[40:43]// 000000003988: D3F30028 1CA20D4E
	v_mfma_f32_16x16x32_fp8_fp8 v[40:43], a[80:81], a[8:9], v[40:43]// 000000003990: D3F30028 1CA21150
	ds_read_b128 a[112:115], v4 offset:384                     // 000000003998: DBFE0180 70000004
	ds_read_b128 a[116:119], v4 offset:640                     // 0000000039A0: DBFE0280 74000004
	v_mfma_f32_16x16x32_fp8_fp8 v[40:43], a[82:83], a[10:11], v[40:43]// 0000000039A8: D3F30028 1CA21552
	v_mfma_f32_16x16x32_fp8_fp8 v[40:43], a[84:85], a[12:13], v[40:43]// 0000000039B0: D3F30028 1CA21954
	v_mfma_f32_16x16x32_fp8_fp8 v[40:43], a[86:87], a[14:15], v[40:43]// 0000000039B8: D3F30028 1CA21D56
	s_waitcnt lgkmcnt(4)                                       // 0000000039C0: BF8CC47F
	v_mfma_f32_16x16x32_fp8_fp8 v[40:43], a[88:89], a[16:17], v[40:43]// 0000000039C4: D3F30028 1CA22158
	ds_read_b128 a[120:123], v4 offset:896                     // 0000000039CC: DBFE0380 78000004
	ds_read_b128 a[124:127], v4 offset:1152                    // 0000000039D4: DBFE0480 7C000004
	v_mfma_f32_16x16x32_fp8_fp8 v[40:43], a[90:91], a[18:19], v[40:43]// 0000000039DC: D3F30028 1CA2255A
	v_mfma_f32_16x16x32_fp8_fp8 v[40:43], a[92:93], a[20:21], v[40:43]// 0000000039E4: D3F30028 1CA2295C
	v_mfma_f32_16x16x32_fp8_fp8 v[40:43], a[94:95], a[22:23], v[40:43]// 0000000039EC: D3F30028 1CA22D5E
	v_mfma_f32_16x16x32_fp8_fp8 v[40:43], a[96:97], a[24:25], v[40:43]// 0000000039F4: D3F30028 1CA23160
	ds_read_b128 a[128:131], v4 offset:1408                    // 0000000039FC: DBFE0580 80000004
	ds_read_b128 a[132:135], v4 offset:1664                    // 000000003A04: DBFE0680 84000004
	v_mfma_f32_16x16x32_fp8_fp8 v[40:43], a[98:99], a[26:27], v[40:43]// 000000003A0C: D3F30028 1CA23562
	v_mfma_f32_16x16x32_fp8_fp8 v[40:43], a[100:101], a[28:29], v[40:43]// 000000003A14: D3F30028 1CA23964
	v_mfma_f32_16x16x32_fp8_fp8 v[40:43], a[102:103], a[30:31], v[40:43]// 000000003A1C: D3F30028 1CA23D66
	s_waitcnt lgkmcnt(4)                                       // 000000003A24: BF8CC47F
	s_barrier                                                  // 000000003A28: BF8A0000
	v_mfma_f32_16x16x32_fp8_fp8 v[40:43], a[104:105], a[32:33], v[40:43]// 000000003A2C: D3F30028 1CA24168
	ds_read_b128 a[136:139], v4 offset:1920                    // 000000003A34: DBFE0780 88000004
	ds_read_b128 a[140:143], v4 offset:2176                    // 000000003A3C: DBFE0880 8C000004
	v_mfma_f32_16x16x32_fp8_fp8 v[40:43], a[106:107], a[34:35], v[40:43]// 000000003A44: D3F30028 1CA2456A
	v_mfma_f32_16x16x32_fp8_fp8 v[44:47], a[108:109], a[0:1], 0// 000000003A4C: D3F3002C 1A02016C
	v_perm_b32 v32, v22, v20, s52                              // 000000003A54: D1ED0020 00D22916
	v_perm_b32 v33, v22, v20, s53                              // 000000003A5C: D1ED0021 00D62916
	v_perm_b32 v34, v23, v21, s52                              // 000000003A64: D1ED0022 00D22B17
	v_perm_b32 v35, v23, v21, s53                              // 000000003A6C: D1ED0023 00D62B17
	v_perm_b32 v28, v34, v32, s54                              // 000000003A74: D1ED001C 00DA4122
	v_perm_b32 v36, v34, v32, s55                              // 000000003A7C: D1ED0024 00DE4122
	v_perm_b32 v30, v35, v33, s54                              // 000000003A84: D1ED001E 00DA4323
	v_perm_b32 v38, v35, v33, s55                              // 000000003A8C: D1ED0026 00DE4323
	v_mfma_f32_16x16x32_fp8_fp8 v[44:47], a[110:111], a[2:3], v[44:47]// 000000003A94: D3F3002C 1CB2056E
	buffer_load_dword v18, s[20:23], 0 offen lds               // 000000003A9C: E0511000 80050012
	s_add_u32 m0, 0, s35                                       // 000000003AA4: 807C2380
	v_mfma_f32_16x16x32_fp8_fp8 v[44:47], a[112:113], a[4:5], v[44:47]// 000000003AA8: D3F3002C 1CB20970
	v_perm_b32 v32, v26, v24, s52                              // 000000003AB0: D1ED0020 00D2311A
	v_perm_b32 v33, v26, v24, s53                              // 000000003AB8: D1ED0021 00D6311A
	v_perm_b32 v34, v27, v25, s52                              // 000000003AC0: D1ED0022 00D2331B
	v_perm_b32 v35, v27, v25, s53                              // 000000003AC8: D1ED0023 00D6331B
	v_perm_b32 v29, v34, v32, s54                              // 000000003AD0: D1ED001D 00DA4122
	v_perm_b32 v37, v34, v32, s55                              // 000000003AD8: D1ED0025 00DE4122
	v_perm_b32 v31, v35, v33, s54                              // 000000003AE0: D1ED001F 00DA4323
	v_perm_b32 v39, v35, v33, s55                              // 000000003AE8: D1ED0027 00DE4323
	v_mfma_f32_16x16x32_fp8_fp8 v[44:47], a[114:115], a[6:7], v[44:47]// 000000003AF0: D3F3002C 1CB20D72
	buffer_load_dword v19, s[20:23], 0 offen lds               // 000000003AF8: E0511000 80050013
	s_add_u32 m0, 0xc0, s34                                    // 000000003B00: 807C22FF 000000C0
	v_mfma_f32_16x16x32_fp8_fp8 v[44:47], a[116:117], a[8:9], v[44:47]// 000000003B08: D3F3002C 1CB21174
	ds_write_b128 v6, v[28:31] offset:45312                    // 000000003B10: D9BEB100 00001C06
	v_mfma_f32_16x16x32_fp8_fp8 v[44:47], a[118:119], a[10:11], v[44:47]// 000000003B18: D3F3002C 1CB21576
	buffer_load_dword v18, s[20:23], 0 offen offset:64 lds     // 000000003B20: E0511040 80050012
	s_add_u32 m0, 0xc0, s35                                    // 000000003B28: 807C23FF 000000C0
	s_waitcnt lgkmcnt(1)                                       // 000000003B30: BF8CC17F
	v_mfma_f32_16x16x32_fp8_fp8 v[44:47], a[120:121], a[12:13], v[44:47]// 000000003B34: D3F3002C 1CB21978
	ds_write_b128 v6, v[36:39] offset:46336                    // 000000003B3C: D9BEB500 00002406
	v_mfma_f32_16x16x32_fp8_fp8 v[44:47], a[122:123], a[14:15], v[44:47]// 000000003B44: D3F3002C 1CB21D7A
	buffer_load_dword v19, s[20:23], 0 offen offset:64 lds     // 000000003B4C: E0511040 80050013
	s_add_u32 m0, 0x180, s34                                   // 000000003B54: 807C22FF 00000180
	v_mfma_f32_16x16x32_fp8_fp8 v[44:47], a[124:125], a[16:17], v[44:47]// 000000003B5C: D3F3002C 1CB2217C
	v_mfma_f32_16x16x32_fp8_fp8 v[44:47], a[126:127], a[18:19], v[44:47]// 000000003B64: D3F3002C 1CB2257E
	buffer_load_dword v18, s[20:23], 0 offen offset:128 lds    // 000000003B6C: E0511080 80050012
	s_add_u32 m0, 0x180, s35                                   // 000000003B74: 807C23FF 00000180
	v_mfma_f32_16x16x32_fp8_fp8 v[44:47], a[128:129], a[20:21], v[44:47]// 000000003B7C: D3F3002C 1CB22980
	v_mfma_f32_16x16x32_fp8_fp8 v[44:47], a[130:131], a[22:23], v[44:47]// 000000003B84: D3F3002C 1CB22D82
	buffer_load_dword v19, s[20:23], 0 offen offset:128 lds    // 000000003B8C: E0511080 80050013
	s_add_u32 m0, 0x240, s34                                   // 000000003B94: 807C22FF 00000240
	v_mfma_f32_16x16x32_fp8_fp8 v[44:47], a[132:133], a[24:25], v[44:47]// 000000003B9C: D3F3002C 1CB23184
	v_mfma_f32_16x16x32_fp8_fp8 v[44:47], a[134:135], a[26:27], v[44:47]// 000000003BA4: D3F3002C 1CB23586
	buffer_load_dword v18, s[20:23], 0 offen offset:192 lds    // 000000003BAC: E05110C0 80050012
	s_add_u32 m0, 0x240, s35                                   // 000000003BB4: 807C23FF 00000240
	v_mfma_f32_16x16x32_fp8_fp8 v[44:47], a[136:137], a[28:29], v[44:47]// 000000003BBC: D3F3002C 1CB23988
	v_mfma_f32_16x16x32_fp8_fp8 v[44:47], a[138:139], a[30:31], v[44:47]// 000000003BC4: D3F3002C 1CB23D8A
	buffer_load_dword v19, s[20:23], 0 offen offset:192 lds    // 000000003BCC: E05110C0 80050013
	s_add_u32 m0, 0x300, s34                                   // 000000003BD4: 807C22FF 00000300
	v_mfma_f32_16x16x32_fp8_fp8 v[44:47], a[140:141], a[32:33], v[44:47]// 000000003BDC: D3F3002C 1CB2418C
	v_mfma_f32_16x16x32_fp8_fp8 v[44:47], a[142:143], a[34:35], v[44:47]// 000000003BE4: D3F3002C 1CB2458E
	buffer_load_dword v18, s[20:23], 0 offen offset:256 lds    // 000000003BEC: E0511100 80050012
	s_add_u32 m0, 0x300, s35                                   // 000000003BF4: 807C23FF 00000300
	v_add_u32_e32 v8, s73, v8                                  // 000000003BFC: 68101049
	s_waitcnt lgkmcnt(0)                                       // 000000003C00: BF8CC07F
	s_barrier                                                  // 000000003C04: BF8A0000
	v_mfma_f32_16x16x32_fp8_fp8 v[48:51], a[72:73], a[36:37], 0// 000000003C08: D3F30030 1A024948
	v_mfma_f32_16x16x32_fp8_fp8 v[48:51], a[74:75], a[38:39], v[48:51]// 000000003C10: D3F30030 1CC24D4A
	v_max3_f32 v24, v40, v41, v40                              // 000000003C18: D1D30018 04A25328
	v_max3_f32 v24, v42, v43, v24                              // 000000003C20: D1D30018 0462572A
	v_max3_f32 v24, v44, v45, v24                              // 000000003C28: D1D30018 04625B2C
	v_max3_f32 v24, v46, v47, v24                              // 000000003C30: D1D30018 04625F2E
	ds_write_b32 v3, v24 offset:53504                          // 000000003C38: D81AD100 00001803
	v_mfma_f32_16x16x32_fp8_fp8 v[48:51], a[76:77], a[40:41], v[48:51]// 000000003C40: D3F30030 1CC2514C
	v_mfma_f32_16x16x32_fp8_fp8 v[48:51], a[78:79], a[42:43], v[48:51]// 000000003C48: D3F30030 1CC2554E
	buffer_load_dword v19, s[20:23], 0 offen offset:256 lds    // 000000003C50: E0511100 80050013
	s_add_u32 m0, 0x3c0, s34                                   // 000000003C58: 807C22FF 000003C0
	v_mfma_f32_16x16x32_fp8_fp8 v[48:51], a[80:81], a[44:45], v[48:51]// 000000003C60: D3F30030 1CC25950
	v_mfma_f32_16x16x32_fp8_fp8 v[48:51], a[82:83], a[46:47], v[48:51]// 000000003C68: D3F30030 1CC25D52
	buffer_load_dword v18, s[20:23], 0 offen offset:320 lds    // 000000003C70: E0511140 80050012
	s_add_u32 m0, 0x3c0, s35                                   // 000000003C78: 807C23FF 000003C0
	v_mfma_f32_16x16x32_fp8_fp8 v[48:51], a[84:85], a[48:49], v[48:51]// 000000003C80: D3F30030 1CC26154
	s_waitcnt lgkmcnt(0)                                       // 000000003C88: BF8CC07F
	ds_read_b32 v20, v2 offset:53504                           // 000000003C8C: D86CD100 14000002
	ds_read_b32 v21, v2 offset:53568                           // 000000003C94: D86CD140 15000002
	v_mfma_f32_16x16x32_fp8_fp8 v[48:51], a[86:87], a[50:51], v[48:51]// 000000003C9C: D3F30030 1CC26556
	ds_read_b32 v22, v2 offset:53632                           // 000000003CA4: D86CD180 16000002
	ds_read_b32 v23, v2 offset:53696                           // 000000003CAC: D86CD1C0 17000002
	v_mfma_f32_16x16x32_fp8_fp8 v[48:51], a[88:89], a[52:53], v[48:51]// 000000003CB4: D3F30030 1CC26958
	v_mfma_f32_16x16x32_fp8_fp8 v[48:51], a[90:91], a[54:55], v[48:51]// 000000003CBC: D3F30030 1CC26D5A
	buffer_load_dword v19, s[20:23], 0 offen offset:320 lds    // 000000003CC4: E0511140 80050013
	s_add_u32 m0, 0x480, s34                                   // 000000003CCC: 807C22FF 00000480
	v_mfma_f32_16x16x32_fp8_fp8 v[48:51], a[92:93], a[56:57], v[48:51]// 000000003CD4: D3F30030 1CC2715C
	v_mfma_f32_16x16x32_fp8_fp8 v[48:51], a[94:95], a[58:59], v[48:51]// 000000003CDC: D3F30030 1CC2755E
	buffer_load_dword v18, s[20:23], 0 offen offset:384 lds    // 000000003CE4: E0511180 80050012
	s_add_u32 m0, 0x480, s35                                   // 000000003CEC: 807C23FF 00000480
	v_mfma_f32_16x16x32_fp8_fp8 v[48:51], a[96:97], a[60:61], v[48:51]// 000000003CF4: D3F30030 1CC27960
	v_mfma_f32_16x16x32_fp8_fp8 v[48:51], a[98:99], a[62:63], v[48:51]// 000000003CFC: D3F30030 1CC27D62
	buffer_load_dword v19, s[20:23], 0 offen offset:384 lds    // 000000003D04: E0511180 80050013
	s_add_u32 m0, 0x540, s34                                   // 000000003D0C: 807C22FF 00000540
	v_mfma_f32_16x16x32_fp8_fp8 v[48:51], a[100:101], a[64:65], v[48:51]// 000000003D14: D3F30030 1CC28164
	s_waitcnt lgkmcnt(0)                                       // 000000003D1C: BF8CC07F
	v_max3_f32 v24, v20, v21, v24                              // 000000003D20: D1D30018 04622B14
	v_max3_f32 v24, v22, v23, v24                              // 000000003D28: D1D30018 04622F16
	v_mfma_f32_16x16x32_fp8_fp8 v[48:51], a[102:103], a[66:67], v[48:51]// 000000003D30: D3F30030 1CC28566
	v_mfma_f32_16x16x32_fp8_fp8 v[48:51], a[104:105], a[68:69], v[48:51]// 000000003D38: D3F30030 1CC28968
	v_mfma_f32_16x16x32_fp8_fp8 v[48:51], a[106:107], a[70:71], v[48:51]// 000000003D40: D3F30030 1CC28D6A
	buffer_load_dword v18, s[20:23], 0 offen offset:448 lds    // 000000003D48: E05111C0 80050012
	s_add_u32 m0, 0x540, s35                                   // 000000003D50: 807C23FF 00000540
	v_mfma_f32_16x16x32_fp8_fp8 v[52:55], a[108:109], a[36:37], 0// 000000003D58: D3F30034 1A02496C
	v_mfma_f32_16x16x32_fp8_fp8 v[52:55], a[110:111], a[38:39], v[52:55]// 000000003D60: D3F30034 1CD24D6E
	buffer_load_dword v19, s[20:23], 0 offen offset:448 lds    // 000000003D68: E05111C0 80050013
	s_add_u32 m0, 0x600, s34                                   // 000000003D70: 807C22FF 00000600
	v_mfma_f32_16x16x32_fp8_fp8 v[52:55], a[112:113], a[40:41], v[52:55]// 000000003D78: D3F30034 1CD25170
	ds_read_b128 a[72:75], v7 offset:37120                     // 000000003D80: DBFE9100 48000007
	ds_read_b128 a[76:79], v7 offset:38144                     // 000000003D88: DBFE9500 4C000007
	v_mfma_f32_16x16x32_fp8_fp8 v[52:55], a[114:115], a[42:43], v[52:55]// 000000003D90: D3F30034 1CD25572
	buffer_load_dword v18, s[20:23], 0 offen offset:512 lds    // 000000003D98: E0511200 80050012
	s_add_u32 m0, 0x600, s35                                   // 000000003DA0: 807C23FF 00000600
	v_mfma_f32_16x16x32_fp8_fp8 v[52:55], a[116:117], a[44:45], v[52:55]// 000000003DA8: D3F30034 1CD25974
	v_mfma_f32_16x16x32_fp8_fp8 v[52:55], a[118:119], a[46:47], v[52:55]// 000000003DB0: D3F30034 1CD25D76
	v_mfma_f32_16x16x32_fp8_fp8 v[52:55], a[120:121], a[48:49], v[52:55]// 000000003DB8: D3F30034 1CD26178
	ds_read_b128 a[80:83], v7 offset:39168                     // 000000003DC0: DBFE9900 50000007
	ds_read_b128 a[84:87], v7 offset:40192                     // 000000003DC8: DBFE9D00 54000007
	v_mfma_f32_16x16x32_fp8_fp8 v[52:55], a[122:123], a[50:51], v[52:55]// 000000003DD0: D3F30034 1CD2657A
	buffer_load_dword v19, s[20:23], 0 offen offset:512 lds    // 000000003DD8: E0511200 80050013
	s_add_u32 m0, 0x6c0, s34                                   // 000000003DE0: 807C22FF 000006C0
	v_mfma_f32_16x16x32_fp8_fp8 v[52:55], a[124:125], a[52:53], v[52:55]// 000000003DE8: D3F30034 1CD2697C
	v_mfma_f32_16x16x32_fp8_fp8 v[52:55], a[126:127], a[54:55], v[52:55]// 000000003DF0: D3F30034 1CD26D7E
	v_mfma_f32_16x16x32_fp8_fp8 v[52:55], a[128:129], a[56:57], v[52:55]// 000000003DF8: D3F30034 1CD27180
	ds_read_b128 a[88:91], v7 offset:41216                     // 000000003E00: DBFEA100 58000007
	ds_read_b128 a[92:95], v7 offset:42240                     // 000000003E08: DBFEA500 5C000007
	v_mfma_f32_16x16x32_fp8_fp8 v[52:55], a[130:131], a[58:59], v[52:55]// 000000003E10: D3F30034 1CD27582
	v_mfma_f32_16x16x32_fp8_fp8 v[52:55], a[132:133], a[60:61], v[52:55]// 000000003E18: D3F30034 1CD27984
	v_mfma_f32_16x16x32_fp8_fp8 v[52:55], a[134:135], a[62:63], v[52:55]// 000000003E20: D3F30034 1CD27D86
	v_mfma_f32_16x16x32_fp8_fp8 v[52:55], a[136:137], a[64:65], v[52:55]// 000000003E28: D3F30034 1CD28188
	ds_read_b128 a[96:99], v7 offset:43264                     // 000000003E30: DBFEA900 60000007
	ds_read_b128 a[100:103], v7 offset:44288                   // 000000003E38: DBFEAD00 64000007
	v_mfma_f32_16x16x32_fp8_fp8 v[52:55], a[138:139], a[66:67], v[52:55]// 000000003E40: D3F30034 1CD2858A
	v_mfma_f32_16x16x32_fp8_fp8 v[52:55], a[140:141], a[68:69], v[52:55]// 000000003E48: D3F30034 1CD2898C
	v_mfma_f32_16x16x32_fp8_fp8 v[52:55], a[142:143], a[70:71], v[52:55]// 000000003E50: D3F30034 1CD28D8E
	v_mov_b32_e32 v25, 0xff7fffff                              // 000000003E58: 7E3202FF FF7FFFFF
	v_cmp_eq_u32_e64 s[38:39], v25, v12                        // 000000003E60: D0CA0026 00021919
	v_max_f32_e32 v20, v24, v12                                // 000000003E68: 16281918
	v_sub_f32_e32 v16, v12, v20                                // 000000003E6C: 0420290C
	v_cndmask_b32_e64 v16, v16, 0, s[38:39]                    // 000000003E70: D1000010 00990110
	v_mov_b32_e32 v12, v20                                     // 000000003E78: 7E180314
	v_mul_f32_e32 v21, s5, v20                                 // 000000003E7C: 0A2A2805
	v_mul_f32_e32 v16, s5, v16                                 // 000000003E80: 0A202005
	v_exp_f32_e32 v16, v16                                     // 000000003E84: 7E204110
	v_fma_f32 v40, v40, s5, -v21                               // 000000003E88: D1CB0028 84540B28
	v_fma_f32 v41, v41, s5, -v21                               // 000000003E90: D1CB0029 84540B29
	v_fma_f32 v42, v42, s5, -v21                               // 000000003E98: D1CB002A 84540B2A
	v_fma_f32 v43, v43, s5, -v21                               // 000000003EA0: D1CB002B 84540B2B
	v_fma_f32 v44, v44, s5, -v21                               // 000000003EA8: D1CB002C 84540B2C
	v_fma_f32 v45, v45, s5, -v21                               // 000000003EB0: D1CB002D 84540B2D
	v_fma_f32 v46, v46, s5, -v21                               // 000000003EB8: D1CB002E 84540B2E
	v_fma_f32 v47, v47, s5, -v21                               // 000000003EC0: D1CB002F 84540B2F
	v_exp_f32_e32 v40, v40                                     // 000000003EC8: 7E504128
	v_exp_f32_e32 v41, v41                                     // 000000003ECC: 7E524129
	v_exp_f32_e32 v42, v42                                     // 000000003ED0: 7E54412A
	v_exp_f32_e32 v43, v43                                     // 000000003ED4: 7E56412B
	v_exp_f32_e32 v44, v44                                     // 000000003ED8: 7E58412C
	v_exp_f32_e32 v45, v45                                     // 000000003EDC: 7E5A412D
	v_exp_f32_e32 v46, v46                                     // 000000003EE0: 7E5C412E
	v_exp_f32_e32 v47, v47                                     // 000000003EE4: 7E5E412F
	v_mul_f32_e32 v14, v16, v14                                // 000000003EE8: 0A1C1D10
	v_mov_b32_e32 v22, v40                                     // 000000003EEC: 7E2C0328
	v_add_f32_e32 v22, v41, v22                                // 000000003EF0: 022C2D29
	v_add_f32_e32 v22, v42, v22                                // 000000003EF4: 022C2D2A
	v_add_f32_e32 v22, v43, v22                                // 000000003EF8: 022C2D2B
	v_add_f32_e32 v22, v44, v22                                // 000000003EFC: 022C2D2C
	v_add_f32_e32 v22, v45, v22                                // 000000003F00: 022C2D2D
	v_add_f32_e32 v22, v46, v22                                // 000000003F04: 022C2D2E
	v_add_f32_e32 v22, v47, v22                                // 000000003F08: 022C2D2F
	v_add_f32_e32 v14, v22, v14                                // 000000003F0C: 021C1D16
	v_cvt_pk_fp8_f32 v40, v40, v41                             // 000000003F10: D2A20028 00025328
	v_cvt_pk_fp8_f32 v40, v42, v43 op_sel:[0,0,1]              // 000000003F18: D2A24028 0002572A
	v_cvt_pk_fp8_f32 v41, v44, v45                             // 000000003F20: D2A20029 00025B2C
	v_cvt_pk_fp8_f32 v41, v46, v47 op_sel:[0,0,1]              // 000000003F28: D2A24029 00025F2E
	s_nop 0                                                    // 000000003F30: BF800000
	v_mul_u32_u24_dpp v18, v11, v9 row_newbcast:0 row_mask:0xf bank_mask:0xf// 000000003F34: 102412FA FF01500B
	v_mul_u32_u24_dpp v19, v11, v9 row_newbcast:8 row_mask:0xf bank_mask:0xf// 000000003F3C: 102612FA FF01580B
	v_add_u32_e32 v18, v18, v1                                 // 000000003F44: 68240312
	v_add_u32_e32 v19, v19, v1                                 // 000000003F48: 68260313
	s_mov_b32 m0, s36                                          // 000000003F4C: BEFC0024
	v_mov_b32_e32 v22, v16                                     // 000000003F50: 7E2C0310
	v_mov_b32_e32 v23, v16                                     // 000000003F54: 7E2E0310
	v_pk_mul_f32 v[56:57], v[22:23], v[56:57]                  // 000000003F58: D3B14038 18027116
	v_pk_mul_f32 v[58:59], v[22:23], v[58:59]                  // 000000003F60: D3B1403A 18027516
	v_pk_mul_f32 v[60:61], v[22:23], v[60:61]                  // 000000003F68: D3B1403C 18027916
	v_pk_mul_f32 v[62:63], v[22:23], v[62:63]                  // 000000003F70: D3B1403E 18027D16
	v_pk_mul_f32 v[64:65], v[22:23], v[64:65]                  // 000000003F78: D3B14040 18028116
	v_pk_mul_f32 v[66:67], v[22:23], v[66:67]                  // 000000003F80: D3B14042 18028516
	v_pk_mul_f32 v[68:69], v[22:23], v[68:69]                  // 000000003F88: D3B14044 18028916
	v_pk_mul_f32 v[70:71], v[22:23], v[70:71]                  // 000000003F90: D3B14046 18028D16
	v_pk_mul_f32 v[72:73], v[22:23], v[72:73]                  // 000000003F98: D3B14048 18029116
	v_pk_mul_f32 v[74:75], v[22:23], v[74:75]                  // 000000003FA0: D3B1404A 18029516
	v_pk_mul_f32 v[76:77], v[22:23], v[76:77]                  // 000000003FA8: D3B1404C 18029916
	v_pk_mul_f32 v[78:79], v[22:23], v[78:79]                  // 000000003FB0: D3B1404E 18029D16
	v_pk_mul_f32 v[80:81], v[22:23], v[80:81]                  // 000000003FB8: D3B14050 1802A116
	v_pk_mul_f32 v[82:83], v[22:23], v[82:83]                  // 000000003FC0: D3B14052 1802A516
	v_pk_mul_f32 v[84:85], v[22:23], v[84:85]                  // 000000003FC8: D3B14054 1802A916
	v_pk_mul_f32 v[86:87], v[22:23], v[86:87]                  // 000000003FD0: D3B14056 1802AD16
	v_pk_mul_f32 v[88:89], v[22:23], v[88:89]                  // 000000003FD8: D3B14058 1802B116
	v_pk_mul_f32 v[90:91], v[22:23], v[90:91]                  // 000000003FE0: D3B1405A 1802B516
	v_pk_mul_f32 v[92:93], v[22:23], v[92:93]                  // 000000003FE8: D3B1405C 1802B916
	v_pk_mul_f32 v[94:95], v[22:23], v[94:95]                  // 000000003FF0: D3B1405E 1802BD16
	v_pk_mul_f32 v[96:97], v[22:23], v[96:97]                  // 000000003FF8: D3B14060 1802C116
	v_pk_mul_f32 v[98:99], v[22:23], v[98:99]                  // 000000004000: D3B14062 1802C516
	v_pk_mul_f32 v[100:101], v[22:23], v[100:101]              // 000000004008: D3B14064 1802C916
	v_pk_mul_f32 v[102:103], v[22:23], v[102:103]              // 000000004010: D3B14066 1802CD16
	v_pk_mul_f32 v[104:105], v[22:23], v[104:105]              // 000000004018: D3B14068 1802D116
	v_pk_mul_f32 v[106:107], v[22:23], v[106:107]              // 000000004020: D3B1406A 1802D516
	v_pk_mul_f32 v[108:109], v[22:23], v[108:109]              // 000000004028: D3B1406C 1802D916
	v_pk_mul_f32 v[110:111], v[22:23], v[110:111]              // 000000004030: D3B1406E 1802DD16
	v_pk_mul_f32 v[112:113], v[22:23], v[112:113]              // 000000004038: D3B14070 1802E116
	v_pk_mul_f32 v[114:115], v[22:23], v[114:115]              // 000000004040: D3B14072 1802E516
	v_pk_mul_f32 v[116:117], v[22:23], v[116:117]              // 000000004048: D3B14074 1802E916
	v_pk_mul_f32 v[118:119], v[22:23], v[118:119]              // 000000004050: D3B14076 1802ED16
	v_pk_mul_f32 v[120:121], v[22:23], v[120:121]              // 000000004058: D3B14078 1802F116
	v_pk_mul_f32 v[122:123], v[22:23], v[122:123]              // 000000004060: D3B1407A 1802F516
	v_pk_mul_f32 v[124:125], v[22:23], v[124:125]              // 000000004068: D3B1407C 1802F916
	v_pk_mul_f32 v[126:127], v[22:23], v[126:127]              // 000000004070: D3B1407E 1802FD16
	v_pk_mul_f32 v[128:129], v[22:23], v[128:129]              // 000000004078: D3B14080 18030116
	v_pk_mul_f32 v[130:131], v[22:23], v[130:131]              // 000000004080: D3B14082 18030516
	v_pk_mul_f32 v[132:133], v[22:23], v[132:133]              // 000000004088: D3B14084 18030916
	v_pk_mul_f32 v[134:135], v[22:23], v[134:135]              // 000000004090: D3B14086 18030D16
	v_pk_mul_f32 v[136:137], v[22:23], v[136:137]              // 000000004098: D3B14088 18031116
	v_pk_mul_f32 v[138:139], v[22:23], v[138:139]              // 0000000040A0: D3B1408A 18031516
	v_pk_mul_f32 v[140:141], v[22:23], v[140:141]              // 0000000040A8: D3B1408C 18031916
	v_pk_mul_f32 v[142:143], v[22:23], v[142:143]              // 0000000040B0: D3B1408E 18031D16
	v_pk_mul_f32 v[144:145], v[22:23], v[144:145]              // 0000000040B8: D3B14090 18032116
	v_pk_mul_f32 v[146:147], v[22:23], v[146:147]              // 0000000040C0: D3B14092 18032516
	v_pk_mul_f32 v[148:149], v[22:23], v[148:149]              // 0000000040C8: D3B14094 18032916
	v_pk_mul_f32 v[150:151], v[22:23], v[150:151]              // 0000000040D0: D3B14096 18032D16
	v_pk_mul_f32 v[152:153], v[22:23], v[152:153]              // 0000000040D8: D3B14098 18033116
	v_pk_mul_f32 v[154:155], v[22:23], v[154:155]              // 0000000040E0: D3B1409A 18033516
	v_accvgpr_read_b32 v20, a144                               // 0000000040E8: D3D84014 18000190
	v_accvgpr_read_b32 v21, a145                               // 0000000040F0: D3D84015 18000191
	v_pk_mul_f32 v[20:21], v[22:23], v[20:21]                  // 0000000040F8: D3B14014 18022916
	v_accvgpr_write_b32 a144, v20                              // 000000004100: D3D94090 18000114
	v_accvgpr_write_b32 a145, v21                              // 000000004108: D3D94091 18000115
	v_accvgpr_read_b32 v20, a146                               // 000000004110: D3D84014 18000192
	v_accvgpr_read_b32 v21, a147                               // 000000004118: D3D84015 18000193
	v_pk_mul_f32 v[20:21], v[22:23], v[20:21]                  // 000000004120: D3B14014 18022916
	v_accvgpr_write_b32 a146, v20                              // 000000004128: D3D94092 18000114
	v_accvgpr_write_b32 a147, v21                              // 000000004130: D3D94093 18000115
	v_accvgpr_read_b32 v20, a148                               // 000000004138: D3D84014 18000194
	v_accvgpr_read_b32 v21, a149                               // 000000004140: D3D84015 18000195
	v_pk_mul_f32 v[20:21], v[22:23], v[20:21]                  // 000000004148: D3B14014 18022916
	v_accvgpr_write_b32 a148, v20                              // 000000004150: D3D94094 18000114
	v_accvgpr_write_b32 a149, v21                              // 000000004158: D3D94095 18000115
	v_accvgpr_read_b32 v20, a150                               // 000000004160: D3D84014 18000196
	v_accvgpr_read_b32 v21, a151                               // 000000004168: D3D84015 18000197
	v_pk_mul_f32 v[20:21], v[22:23], v[20:21]                  // 000000004170: D3B14014 18022916
	v_accvgpr_write_b32 a150, v20                              // 000000004178: D3D94096 18000114
	v_accvgpr_write_b32 a151, v21                              // 000000004180: D3D94097 18000115
	v_accvgpr_read_b32 v20, a152                               // 000000004188: D3D84014 18000198
	v_accvgpr_read_b32 v21, a153                               // 000000004190: D3D84015 18000199
	v_pk_mul_f32 v[20:21], v[22:23], v[20:21]                  // 000000004198: D3B14014 18022916
	v_accvgpr_write_b32 a152, v20                              // 0000000041A0: D3D94098 18000114
	v_accvgpr_write_b32 a153, v21                              // 0000000041A8: D3D94099 18000115
	v_accvgpr_read_b32 v20, a154                               // 0000000041B0: D3D84014 1800019A
	v_accvgpr_read_b32 v21, a155                               // 0000000041B8: D3D84015 1800019B
	v_pk_mul_f32 v[20:21], v[22:23], v[20:21]                  // 0000000041C0: D3B14014 18022916
	v_accvgpr_write_b32 a154, v20                              // 0000000041C8: D3D9409A 18000114
	v_accvgpr_write_b32 a155, v21                              // 0000000041D0: D3D9409B 18000115
	v_accvgpr_read_b32 v20, a156                               // 0000000041D8: D3D84014 1800019C
	v_accvgpr_read_b32 v21, a157                               // 0000000041E0: D3D84015 1800019D
	v_pk_mul_f32 v[20:21], v[22:23], v[20:21]                  // 0000000041E8: D3B14014 18022916
	v_accvgpr_write_b32 a156, v20                              // 0000000041F0: D3D9409C 18000114
	v_accvgpr_write_b32 a157, v21                              // 0000000041F8: D3D9409D 18000115
	v_accvgpr_read_b32 v20, a158                               // 000000004200: D3D84014 1800019E
	v_accvgpr_read_b32 v21, a159                               // 000000004208: D3D84015 1800019F
	v_pk_mul_f32 v[20:21], v[22:23], v[20:21]                  // 000000004210: D3B14014 18022916
	v_accvgpr_write_b32 a158, v20                              // 000000004218: D3D9409E 18000114
	v_accvgpr_write_b32 a159, v21                              // 000000004220: D3D9409F 18000115
	v_accvgpr_read_b32 v20, a160                               // 000000004228: D3D84014 180001A0
	v_accvgpr_read_b32 v21, a161                               // 000000004230: D3D84015 180001A1
	v_pk_mul_f32 v[20:21], v[22:23], v[20:21]                  // 000000004238: D3B14014 18022916
	v_accvgpr_write_b32 a160, v20                              // 000000004240: D3D940A0 18000114
	v_accvgpr_write_b32 a161, v21                              // 000000004248: D3D940A1 18000115
	v_accvgpr_read_b32 v20, a162                               // 000000004250: D3D84014 180001A2
	v_accvgpr_read_b32 v21, a163                               // 000000004258: D3D84015 180001A3
	v_pk_mul_f32 v[20:21], v[22:23], v[20:21]                  // 000000004260: D3B14014 18022916
	v_accvgpr_write_b32 a162, v20                              // 000000004268: D3D940A2 18000114
	v_accvgpr_write_b32 a163, v21                              // 000000004270: D3D940A3 18000115
	v_accvgpr_read_b32 v20, a164                               // 000000004278: D3D84014 180001A4
	v_accvgpr_read_b32 v21, a165                               // 000000004280: D3D84015 180001A5
	v_pk_mul_f32 v[20:21], v[22:23], v[20:21]                  // 000000004288: D3B14014 18022916
	v_accvgpr_write_b32 a164, v20                              // 000000004290: D3D940A4 18000114
	v_accvgpr_write_b32 a165, v21                              // 000000004298: D3D940A5 18000115
	v_accvgpr_read_b32 v20, a166                               // 0000000042A0: D3D84014 180001A6
	v_accvgpr_read_b32 v21, a167                               // 0000000042A8: D3D84015 180001A7
	v_pk_mul_f32 v[20:21], v[22:23], v[20:21]                  // 0000000042B0: D3B14014 18022916
	v_accvgpr_write_b32 a166, v20                              // 0000000042B8: D3D940A6 18000114
	v_accvgpr_write_b32 a167, v21                              // 0000000042C0: D3D940A7 18000115
	v_accvgpr_read_b32 v20, a168                               // 0000000042C8: D3D84014 180001A8
	v_accvgpr_read_b32 v21, a169                               // 0000000042D0: D3D84015 180001A9
	v_pk_mul_f32 v[20:21], v[22:23], v[20:21]                  // 0000000042D8: D3B14014 18022916
	v_accvgpr_write_b32 a168, v20                              // 0000000042E0: D3D940A8 18000114
	v_accvgpr_write_b32 a169, v21                              // 0000000042E8: D3D940A9 18000115
	v_accvgpr_read_b32 v20, a170                               // 0000000042F0: D3D84014 180001AA
	v_accvgpr_read_b32 v21, a171                               // 0000000042F8: D3D84015 180001AB
	v_pk_mul_f32 v[20:21], v[22:23], v[20:21]                  // 000000004300: D3B14014 18022916
	v_accvgpr_write_b32 a170, v20                              // 000000004308: D3D940AA 18000114
	v_accvgpr_write_b32 a171, v21                              // 000000004310: D3D940AB 18000115
	s_waitcnt lgkmcnt(0)                                       // 000000004318: BF8CC07F
	v_mfma_f32_16x16x32_fp8_fp8 v[56:59], a[72:73], v[40:41], v[56:59]// 00000000431C: D3F30038 0CE25148
	ds_read_b128 a[104:107], v7 offset:45312                   // 000000004324: DBFEB100 68000007
	ds_read_b128 a[108:111], v7 offset:46336                   // 00000000432C: DBFEB500 6C000007
	v_mfma_f32_16x16x32_fp8_fp8 v[60:63], a[74:75], v[40:41], v[60:63]// 000000004334: D3F3003C 0CF2514A
	v_mfma_f32_16x16x32_fp8_fp8 v[64:67], a[76:77], v[40:41], v[64:67]// 00000000433C: D3F30040 0D02514C
	v_mfma_f32_16x16x32_fp8_fp8 v[68:71], a[78:79], v[40:41], v[68:71]// 000000004344: D3F30044 0D12514E
	v_mfma_f32_16x16x32_fp8_fp8 v[72:75], a[80:81], v[40:41], v[72:75]// 00000000434C: D3F30048 0D225150
	ds_read_b128 a[112:115], v7 offset:47360                   // 000000004354: DBFEB900 70000007
	ds_read_b128 a[116:119], v7 offset:48384                   // 00000000435C: DBFEBD00 74000007
	v_mfma_f32_16x16x32_fp8_fp8 v[76:79], a[82:83], v[40:41], v[76:79]// 000000004364: D3F3004C 0D325152
	v_mfma_f32_16x16x32_fp8_fp8 v[80:83], a[84:85], v[40:41], v[80:83]// 00000000436C: D3F30050 0D425154
	v_mfma_f32_16x16x32_fp8_fp8 v[84:87], a[86:87], v[40:41], v[84:87]// 000000004374: D3F30054 0D525156
	v_mfma_f32_16x16x32_fp8_fp8 v[88:91], a[88:89], v[40:41], v[88:91]// 00000000437C: D3F30058 0D625158
	ds_read_b128 a[120:123], v7 offset:49408                   // 000000004384: DBFEC100 78000007
	ds_read_b128 a[124:127], v7 offset:50432                   // 00000000438C: DBFEC500 7C000007
	v_mfma_f32_16x16x32_fp8_fp8 v[92:95], a[90:91], v[40:41], v[92:95]// 000000004394: D3F3005C 0D72515A
	v_mfma_f32_16x16x32_fp8_fp8 v[96:99], a[92:93], v[40:41], v[96:99]// 00000000439C: D3F30060 0D82515C
	v_mfma_f32_16x16x32_fp8_fp8 v[100:103], a[94:95], v[40:41], v[100:103]// 0000000043A4: D3F30064 0D92515E
	v_mfma_f32_16x16x32_fp8_fp8 v[104:107], a[96:97], v[40:41], v[104:107]// 0000000043AC: D3F30068 0DA25160
	ds_read_b128 a[128:131], v7 offset:51456                   // 0000000043B4: DBFEC900 80000007
	ds_read_b128 a[132:135], v7 offset:52480                   // 0000000043BC: DBFECD00 84000007
	v_mfma_f32_16x16x32_fp8_fp8 v[108:111], a[98:99], v[40:41], v[108:111]// 0000000043C4: D3F3006C 0DB25162
	v_mfma_f32_16x16x32_fp8_fp8 v[112:115], a[100:101], v[40:41], v[112:115]// 0000000043CC: D3F30070 0DC25164
	v_mfma_f32_16x16x32_fp8_fp8 v[116:119], a[102:103], v[40:41], v[116:119]// 0000000043D4: D3F30074 0DD25166
	s_waitcnt lgkmcnt(4)                                       // 0000000043DC: BF8CC47F
	v_mfma_f32_16x16x32_fp8_fp8 v[120:123], a[104:105], v[40:41], v[120:123]// 0000000043E0: D3F30078 0DE25168
	v_max3_f32 v24, v48, v49, v48                              // 0000000043E8: D1D30018 04C26330
	v_max3_f32 v24, v50, v51, v24                              // 0000000043F0: D1D30018 04626732
	v_max3_f32 v24, v52, v53, v24                              // 0000000043F8: D1D30018 04626B34
	v_max3_f32 v24, v54, v55, v24                              // 000000004400: D1D30018 04626F36
	ds_write_b32 v3, v24 offset:54528                          // 000000004408: D81AD500 00001803
	v_mfma_f32_16x16x32_fp8_fp8 v[124:127], a[106:107], v[40:41], v[124:127]// 000000004410: D3F3007C 0DF2516A
	v_mfma_f32_16x16x32_fp8_fp8 v[128:131], a[108:109], v[40:41], v[128:131]// 000000004418: D3F30080 0E02516C
	v_mfma_f32_16x16x32_fp8_fp8 v[132:135], a[110:111], v[40:41], v[132:135]// 000000004420: D3F30084 0E12516E
	v_mfma_f32_16x16x32_fp8_fp8 v[136:139], a[112:113], v[40:41], v[136:139]// 000000004428: D3F30088 0E225170
	v_mfma_f32_16x16x32_fp8_fp8 v[140:143], a[114:115], v[40:41], v[140:143]// 000000004430: D3F3008C 0E325172
	v_mfma_f32_16x16x32_fp8_fp8 v[144:147], a[116:117], v[40:41], v[144:147]// 000000004438: D3F30090 0E425174
	v_mfma_f32_16x16x32_fp8_fp8 v[148:151], a[118:119], v[40:41], v[148:151]// 000000004440: D3F30094 0E525176
	s_waitcnt lgkmcnt(0)                                       // 000000004448: BF8CC07F
	v_mfma_f32_16x16x32_fp8_fp8 v[152:155], a[120:121], v[40:41], v[152:155]// 00000000444C: D3F30098 0E625178
	s_waitcnt lgkmcnt(0)                                       // 000000004454: BF8CC07F
	ds_read_b32 v20, v2 offset:54528                           // 000000004458: D86CD500 14000002
	ds_read_b32 v21, v2 offset:54592                           // 000000004460: D86CD540 15000002
	v_mfma_f32_16x16x32_fp8_fp8 a[144:147], a[122:123], v[40:41], a[144:147]// 000000004468: D3F38090 0E42517A
	ds_read_b32 v22, v2 offset:54656                           // 000000004470: D86CD580 16000002
	ds_read_b32 v23, v2 offset:54720                           // 000000004478: D86CD5C0 17000002
	v_mfma_f32_16x16x32_fp8_fp8 a[148:151], a[124:125], v[40:41], a[148:151]// 000000004480: D3F38094 0E52517C
	v_mfma_f32_16x16x32_fp8_fp8 a[152:155], a[126:127], v[40:41], a[152:155]// 000000004488: D3F38098 0E62517E
	v_mfma_f32_16x16x32_fp8_fp8 a[156:159], a[128:129], v[40:41], a[156:159]// 000000004490: D3F3809C 0E725180
	v_mfma_f32_16x16x32_fp8_fp8 a[160:163], a[130:131], v[40:41], a[160:163]// 000000004498: D3F380A0 0E825182
	v_mfma_f32_16x16x32_fp8_fp8 a[164:167], a[132:133], v[40:41], a[164:167]// 0000000044A0: D3F380A4 0E925184
	v_mfma_f32_16x16x32_fp8_fp8 a[168:171], a[134:135], v[40:41], a[168:171]// 0000000044A8: D3F380A8 0EA25186
	s_waitcnt lgkmcnt(0)                                       // 0000000044B0: BF8CC07F
	v_max3_f32 v24, v20, v21, v24                              // 0000000044B4: D1D30018 04622B14
	v_max3_f32 v24, v22, v23, v24                              // 0000000044BC: D1D30018 04622F16
	v_mov_b32_e32 v25, 0xff7fffff                              // 0000000044C4: 7E3202FF FF7FFFFF
	v_cmp_eq_u32_e64 s[38:39], v25, v13                        // 0000000044CC: D0CA0026 00021B19
	v_max_f32_e32 v20, v24, v13                                // 0000000044D4: 16281B18
	v_sub_f32_e32 v17, v13, v20                                // 0000000044D8: 0422290D
	v_cndmask_b32_e64 v17, v17, 0, s[38:39]                    // 0000000044DC: D1000011 00990111
	v_mov_b32_e32 v13, v20                                     // 0000000044E4: 7E1A0314
	v_mul_f32_e32 v21, s5, v20                                 // 0000000044E8: 0A2A2805
	v_mul_f32_e32 v17, s5, v17                                 // 0000000044EC: 0A222205
	v_exp_f32_e32 v17, v17                                     // 0000000044F0: 7E224111
	v_fma_f32 v48, v48, s5, -v21                               // 0000000044F4: D1CB0030 84540B30
	v_fma_f32 v49, v49, s5, -v21                               // 0000000044FC: D1CB0031 84540B31
	v_fma_f32 v50, v50, s5, -v21                               // 000000004504: D1CB0032 84540B32
	v_fma_f32 v51, v51, s5, -v21                               // 00000000450C: D1CB0033 84540B33
	v_fma_f32 v52, v52, s5, -v21                               // 000000004514: D1CB0034 84540B34
	v_fma_f32 v53, v53, s5, -v21                               // 00000000451C: D1CB0035 84540B35
	v_fma_f32 v54, v54, s5, -v21                               // 000000004524: D1CB0036 84540B36
	v_fma_f32 v55, v55, s5, -v21                               // 00000000452C: D1CB0037 84540B37
	v_exp_f32_e32 v48, v48                                     // 000000004534: 7E604130
	v_exp_f32_e32 v49, v49                                     // 000000004538: 7E624131
	v_exp_f32_e32 v50, v50                                     // 00000000453C: 7E644132
	v_exp_f32_e32 v51, v51                                     // 000000004540: 7E664133
	v_exp_f32_e32 v52, v52                                     // 000000004544: 7E684134
	v_exp_f32_e32 v53, v53                                     // 000000004548: 7E6A4135
	v_exp_f32_e32 v54, v54                                     // 00000000454C: 7E6C4136
	v_exp_f32_e32 v55, v55                                     // 000000004550: 7E6E4137
	v_mul_f32_e32 v15, v17, v15                                // 000000004554: 0A1E1F11
	v_mov_b32_e32 v22, v48                                     // 000000004558: 7E2C0330
	v_add_f32_e32 v22, v49, v22                                // 00000000455C: 022C2D31
	v_add_f32_e32 v22, v50, v22                                // 000000004560: 022C2D32
	v_add_f32_e32 v22, v51, v22                                // 000000004564: 022C2D33
	v_add_f32_e32 v22, v52, v22                                // 000000004568: 022C2D34
	v_add_f32_e32 v22, v53, v22                                // 00000000456C: 022C2D35
	v_add_f32_e32 v22, v54, v22                                // 000000004570: 022C2D36
	v_add_f32_e32 v22, v55, v22                                // 000000004574: 022C2D37
	v_add_f32_e32 v15, v22, v15                                // 000000004578: 021E1F16
	v_cvt_pk_fp8_f32 v42, v48, v49                             // 00000000457C: D2A2002A 00026330
	v_cvt_pk_fp8_f32 v42, v50, v51 op_sel:[0,0,1]              // 000000004584: D2A2402A 00026732
	v_cvt_pk_fp8_f32 v43, v52, v53                             // 00000000458C: D2A2002B 00026B34
	v_cvt_pk_fp8_f32 v43, v54, v55 op_sel:[0,0,1]              // 000000004594: D2A2402B 00026F36
	s_nop 0                                                    // 00000000459C: BF800000
	v_mov_b32_e32 v22, v17                                     // 0000000045A0: 7E2C0311
	v_mov_b32_e32 v23, v17                                     // 0000000045A4: 7E2E0311
	v_pk_mul_f32 v[156:157], v[22:23], v[156:157]              // 0000000045A8: D3B1409C 18033916
	v_pk_mul_f32 v[158:159], v[22:23], v[158:159]              // 0000000045B0: D3B1409E 18033D16
	v_pk_mul_f32 v[160:161], v[22:23], v[160:161]              // 0000000045B8: D3B140A0 18034116
	v_pk_mul_f32 v[162:163], v[22:23], v[162:163]              // 0000000045C0: D3B140A2 18034516
	v_pk_mul_f32 v[164:165], v[22:23], v[164:165]              // 0000000045C8: D3B140A4 18034916
	v_pk_mul_f32 v[166:167], v[22:23], v[166:167]              // 0000000045D0: D3B140A6 18034D16
	v_pk_mul_f32 v[168:169], v[22:23], v[168:169]              // 0000000045D8: D3B140A8 18035116
	v_pk_mul_f32 v[170:171], v[22:23], v[170:171]              // 0000000045E0: D3B140AA 18035516
	v_pk_mul_f32 v[172:173], v[22:23], v[172:173]              // 0000000045E8: D3B140AC 18035916
	v_pk_mul_f32 v[174:175], v[22:23], v[174:175]              // 0000000045F0: D3B140AE 18035D16
	v_pk_mul_f32 v[176:177], v[22:23], v[176:177]              // 0000000045F8: D3B140B0 18036116
	v_pk_mul_f32 v[178:179], v[22:23], v[178:179]              // 000000004600: D3B140B2 18036516
	v_pk_mul_f32 v[180:181], v[22:23], v[180:181]              // 000000004608: D3B140B4 18036916
	v_pk_mul_f32 v[182:183], v[22:23], v[182:183]              // 000000004610: D3B140B6 18036D16
	v_pk_mul_f32 v[184:185], v[22:23], v[184:185]              // 000000004618: D3B140B8 18037116
	v_pk_mul_f32 v[186:187], v[22:23], v[186:187]              // 000000004620: D3B140BA 18037516
	v_pk_mul_f32 v[188:189], v[22:23], v[188:189]              // 000000004628: D3B140BC 18037916
	v_pk_mul_f32 v[190:191], v[22:23], v[190:191]              // 000000004630: D3B140BE 18037D16
	v_pk_mul_f32 v[192:193], v[22:23], v[192:193]              // 000000004638: D3B140C0 18038116
	v_pk_mul_f32 v[194:195], v[22:23], v[194:195]              // 000000004640: D3B140C2 18038516
	v_pk_mul_f32 v[196:197], v[22:23], v[196:197]              // 000000004648: D3B140C4 18038916
	v_pk_mul_f32 v[198:199], v[22:23], v[198:199]              // 000000004650: D3B140C6 18038D16
	v_pk_mul_f32 v[200:201], v[22:23], v[200:201]              // 000000004658: D3B140C8 18039116
	v_pk_mul_f32 v[202:203], v[22:23], v[202:203]              // 000000004660: D3B140CA 18039516
	v_pk_mul_f32 v[204:205], v[22:23], v[204:205]              // 000000004668: D3B140CC 18039916
	v_pk_mul_f32 v[206:207], v[22:23], v[206:207]              // 000000004670: D3B140CE 18039D16
	v_pk_mul_f32 v[208:209], v[22:23], v[208:209]              // 000000004678: D3B140D0 1803A116
	v_pk_mul_f32 v[210:211], v[22:23], v[210:211]              // 000000004680: D3B140D2 1803A516
	v_pk_mul_f32 v[212:213], v[22:23], v[212:213]              // 000000004688: D3B140D4 1803A916
	v_pk_mul_f32 v[214:215], v[22:23], v[214:215]              // 000000004690: D3B140D6 1803AD16
	v_pk_mul_f32 v[216:217], v[22:23], v[216:217]              // 000000004698: D3B140D8 1803B116
	v_pk_mul_f32 v[218:219], v[22:23], v[218:219]              // 0000000046A0: D3B140DA 1803B516
	v_pk_mul_f32 v[220:221], v[22:23], v[220:221]              // 0000000046A8: D3B140DC 1803B916
	v_pk_mul_f32 v[222:223], v[22:23], v[222:223]              // 0000000046B0: D3B140DE 1803BD16
	v_pk_mul_f32 v[224:225], v[22:23], v[224:225]              // 0000000046B8: D3B140E0 1803C116
	v_pk_mul_f32 v[226:227], v[22:23], v[226:227]              // 0000000046C0: D3B140E2 1803C516
	v_pk_mul_f32 v[228:229], v[22:23], v[228:229]              // 0000000046C8: D3B140E4 1803C916
	v_pk_mul_f32 v[230:231], v[22:23], v[230:231]              // 0000000046D0: D3B140E6 1803CD16
	v_pk_mul_f32 v[232:233], v[22:23], v[232:233]              // 0000000046D8: D3B140E8 1803D116
	v_pk_mul_f32 v[234:235], v[22:23], v[234:235]              // 0000000046E0: D3B140EA 1803D516
	v_pk_mul_f32 v[236:237], v[22:23], v[236:237]              // 0000000046E8: D3B140EC 1803D916
	v_pk_mul_f32 v[238:239], v[22:23], v[238:239]              // 0000000046F0: D3B140EE 1803DD16
	v_pk_mul_f32 v[240:241], v[22:23], v[240:241]              // 0000000046F8: D3B140F0 1803E116
	v_pk_mul_f32 v[242:243], v[22:23], v[242:243]              // 000000004700: D3B140F2 1803E516
	v_pk_mul_f32 v[244:245], v[22:23], v[244:245]              // 000000004708: D3B140F4 1803E916
	v_pk_mul_f32 v[246:247], v[22:23], v[246:247]              // 000000004710: D3B140F6 1803ED16
	v_pk_mul_f32 v[248:249], v[22:23], v[248:249]              // 000000004718: D3B140F8 1803F116
	v_pk_mul_f32 v[250:251], v[22:23], v[250:251]              // 000000004720: D3B140FA 1803F516
	v_pk_mul_f32 v[252:253], v[22:23], v[252:253]              // 000000004728: D3B140FC 1803F916
	v_pk_mul_f32 v[254:255], v[22:23], v[254:255]              // 000000004730: D3B140FE 1803FD16
	v_accvgpr_read_b32 v20, a172                               // 000000004738: D3D84014 180001AC
	v_accvgpr_read_b32 v21, a173                               // 000000004740: D3D84015 180001AD
	v_pk_mul_f32 v[20:21], v[22:23], v[20:21]                  // 000000004748: D3B14014 18022916
	v_accvgpr_write_b32 a172, v20                              // 000000004750: D3D940AC 18000114
	v_accvgpr_write_b32 a173, v21                              // 000000004758: D3D940AD 18000115
	v_accvgpr_read_b32 v20, a174                               // 000000004760: D3D84014 180001AE
	v_accvgpr_read_b32 v21, a175                               // 000000004768: D3D84015 180001AF
	v_pk_mul_f32 v[20:21], v[22:23], v[20:21]                  // 000000004770: D3B14014 18022916
	v_accvgpr_write_b32 a174, v20                              // 000000004778: D3D940AE 18000114
	v_accvgpr_write_b32 a175, v21                              // 000000004780: D3D940AF 18000115
	v_accvgpr_read_b32 v20, a176                               // 000000004788: D3D84014 180001B0
	v_accvgpr_read_b32 v21, a177                               // 000000004790: D3D84015 180001B1
	v_pk_mul_f32 v[20:21], v[22:23], v[20:21]                  // 000000004798: D3B14014 18022916
	v_accvgpr_write_b32 a176, v20                              // 0000000047A0: D3D940B0 18000114
	v_accvgpr_write_b32 a177, v21                              // 0000000047A8: D3D940B1 18000115
	v_accvgpr_read_b32 v20, a178                               // 0000000047B0: D3D84014 180001B2
	v_accvgpr_read_b32 v21, a179                               // 0000000047B8: D3D84015 180001B3
	v_pk_mul_f32 v[20:21], v[22:23], v[20:21]                  // 0000000047C0: D3B14014 18022916
	v_accvgpr_write_b32 a178, v20                              // 0000000047C8: D3D940B2 18000114
	v_accvgpr_write_b32 a179, v21                              // 0000000047D0: D3D940B3 18000115
	v_accvgpr_read_b32 v20, a180                               // 0000000047D8: D3D84014 180001B4
	v_accvgpr_read_b32 v21, a181                               // 0000000047E0: D3D84015 180001B5
	v_pk_mul_f32 v[20:21], v[22:23], v[20:21]                  // 0000000047E8: D3B14014 18022916
	v_accvgpr_write_b32 a180, v20                              // 0000000047F0: D3D940B4 18000114
	v_accvgpr_write_b32 a181, v21                              // 0000000047F8: D3D940B5 18000115
	v_accvgpr_read_b32 v20, a182                               // 000000004800: D3D84014 180001B6
	v_accvgpr_read_b32 v21, a183                               // 000000004808: D3D84015 180001B7
	v_pk_mul_f32 v[20:21], v[22:23], v[20:21]                  // 000000004810: D3B14014 18022916
	v_accvgpr_write_b32 a182, v20                              // 000000004818: D3D940B6 18000114
	v_accvgpr_write_b32 a183, v21                              // 000000004820: D3D940B7 18000115
	v_accvgpr_read_b32 v20, a184                               // 000000004828: D3D84014 180001B8
	v_accvgpr_read_b32 v21, a185                               // 000000004830: D3D84015 180001B9
	v_pk_mul_f32 v[20:21], v[22:23], v[20:21]                  // 000000004838: D3B14014 18022916
	v_accvgpr_write_b32 a184, v20                              // 000000004840: D3D940B8 18000114
	v_accvgpr_write_b32 a185, v21                              // 000000004848: D3D940B9 18000115
	v_accvgpr_read_b32 v20, a186                               // 000000004850: D3D84014 180001BA
	v_accvgpr_read_b32 v21, a187                               // 000000004858: D3D84015 180001BB
	v_pk_mul_f32 v[20:21], v[22:23], v[20:21]                  // 000000004860: D3B14014 18022916
	v_accvgpr_write_b32 a186, v20                              // 000000004868: D3D940BA 18000114
	v_accvgpr_write_b32 a187, v21                              // 000000004870: D3D940BB 18000115
	v_accvgpr_read_b32 v20, a188                               // 000000004878: D3D84014 180001BC
	v_accvgpr_read_b32 v21, a189                               // 000000004880: D3D84015 180001BD
	v_pk_mul_f32 v[20:21], v[22:23], v[20:21]                  // 000000004888: D3B14014 18022916
	v_accvgpr_write_b32 a188, v20                              // 000000004890: D3D940BC 18000114
	v_accvgpr_write_b32 a189, v21                              // 000000004898: D3D940BD 18000115
	v_accvgpr_read_b32 v20, a190                               // 0000000048A0: D3D84014 180001BE
	v_accvgpr_read_b32 v21, a191                               // 0000000048A8: D3D84015 180001BF
	v_pk_mul_f32 v[20:21], v[22:23], v[20:21]                  // 0000000048B0: D3B14014 18022916
	v_accvgpr_write_b32 a190, v20                              // 0000000048B8: D3D940BE 18000114
	v_accvgpr_write_b32 a191, v21                              // 0000000048C0: D3D940BF 18000115
	v_accvgpr_read_b32 v20, a192                               // 0000000048C8: D3D84014 180001C0
	v_accvgpr_read_b32 v21, a193                               // 0000000048D0: D3D84015 180001C1
	v_pk_mul_f32 v[20:21], v[22:23], v[20:21]                  // 0000000048D8: D3B14014 18022916
	v_accvgpr_write_b32 a192, v20                              // 0000000048E0: D3D940C0 18000114
	v_accvgpr_write_b32 a193, v21                              // 0000000048E8: D3D940C1 18000115
	v_accvgpr_read_b32 v20, a194                               // 0000000048F0: D3D84014 180001C2
	v_accvgpr_read_b32 v21, a195                               // 0000000048F8: D3D84015 180001C3
	v_pk_mul_f32 v[20:21], v[22:23], v[20:21]                  // 000000004900: D3B14014 18022916
	v_accvgpr_write_b32 a194, v20                              // 000000004908: D3D940C2 18000114
	v_accvgpr_write_b32 a195, v21                              // 000000004910: D3D940C3 18000115
	v_accvgpr_read_b32 v20, a196                               // 000000004918: D3D84014 180001C4
	v_accvgpr_read_b32 v21, a197                               // 000000004920: D3D84015 180001C5
	v_pk_mul_f32 v[20:21], v[22:23], v[20:21]                  // 000000004928: D3B14014 18022916
	v_accvgpr_write_b32 a196, v20                              // 000000004930: D3D940C4 18000114
	v_accvgpr_write_b32 a197, v21                              // 000000004938: D3D940C5 18000115
	v_accvgpr_read_b32 v20, a198                               // 000000004940: D3D84014 180001C6
	v_accvgpr_read_b32 v21, a199                               // 000000004948: D3D84015 180001C7
	v_pk_mul_f32 v[20:21], v[22:23], v[20:21]                  // 000000004950: D3B14014 18022916
	v_accvgpr_write_b32 a198, v20                              // 000000004958: D3D940C6 18000114
	v_accvgpr_write_b32 a199, v21                              // 000000004960: D3D940C7 18000115
	s_waitcnt vmcnt(18) lgkmcnt(0)                             // 000000004968: BF8C4072
	s_barrier                                                  // 00000000496C: BF8A0000
	v_mfma_f32_16x16x32_fp8_fp8 v[156:159], a[72:73], v[42:43], v[156:159]// 000000004970: D3F3009C 0E725548
	v_mfma_f32_16x16x32_fp8_fp8 v[160:163], a[74:75], v[42:43], v[160:163]// 000000004978: D3F300A0 0E82554A
	ds_read_b32 v20, v5 offset:18560                           // 000000004980: D86C4880 14000005
	ds_read_b32 v21, v5 offset:23200                           // 000000004988: D86C5AA0 15000005
	ds_read_b32 v22, v5 offset:27840                           // 000000004990: D86C6CC0 16000005
	ds_read_b32 v23, v5 offset:32480                           // 000000004998: D86C7EE0 17000005
	v_mfma_f32_16x16x32_fp8_fp8 v[164:167], a[76:77], v[42:43], v[164:167]// 0000000049A0: D3F300A4 0E92554C
	v_mfma_f32_16x16x32_fp8_fp8 v[168:171], a[78:79], v[42:43], v[168:171]// 0000000049A8: D3F300A8 0EA2554E
	ds_read_b32 v24, v5 offset:18688                           // 0000000049B0: D86C4900 18000005
	ds_read_b32 v25, v5 offset:23328                           // 0000000049B8: D86C5B20 19000005
	ds_read_b32 v26, v5 offset:27968                           // 0000000049C0: D86C6D40 1A000005
	ds_read_b32 v27, v5 offset:32608                           // 0000000049C8: D86C7F60 1B000005
	v_mfma_f32_16x16x32_fp8_fp8 v[172:175], a[80:81], v[42:43], v[172:175]// 0000000049D0: D3F300AC 0EB25550
	v_mfma_f32_16x16x32_fp8_fp8 v[176:179], a[82:83], v[42:43], v[176:179]// 0000000049D8: D3F300B0 0EC25552
	ds_read_b128 a[72:75], v4 offset:18560                     // 0000000049E0: DBFE4880 48000004
	ds_read_b128 a[76:79], v4 offset:18816                     // 0000000049E8: DBFE4980 4C000004
	v_mfma_f32_16x16x32_fp8_fp8 v[180:183], a[84:85], v[42:43], v[180:183]// 0000000049F0: D3F300B4 0ED25554
	v_mfma_f32_16x16x32_fp8_fp8 v[184:187], a[86:87], v[42:43], v[184:187]// 0000000049F8: D3F300B8 0EE25556
	s_waitcnt lgkmcnt(2)                                       // 000000004A00: BF8CC27F
	v_perm_b32 v32, v22, v20, s52                              // 000000004A04: D1ED0020 00D22916
	v_perm_b32 v33, v22, v20, s53                              // 000000004A0C: D1ED0021 00D62916
	v_perm_b32 v34, v23, v21, s52                              // 000000004A14: D1ED0022 00D22B17
	v_perm_b32 v35, v23, v21, s53                              // 000000004A1C: D1ED0023 00D62B17
	v_perm_b32 v28, v34, v32, s54                              // 000000004A24: D1ED001C 00DA4122
	v_perm_b32 v36, v34, v32, s55                              // 000000004A2C: D1ED0024 00DE4122
	v_perm_b32 v30, v35, v33, s54                              // 000000004A34: D1ED001E 00DA4323
	v_perm_b32 v38, v35, v33, s55                              // 000000004A3C: D1ED0026 00DE4323
	v_mfma_f32_16x16x32_fp8_fp8 v[188:191], a[88:89], v[42:43], v[188:191]// 000000004A44: D3F300BC 0EF25558
	v_mfma_f32_16x16x32_fp8_fp8 v[192:195], a[90:91], v[42:43], v[192:195]// 000000004A4C: D3F300C0 0F02555A
	v_perm_b32 v32, v26, v24, s52                              // 000000004A54: D1ED0020 00D2311A
	v_perm_b32 v33, v26, v24, s53                              // 000000004A5C: D1ED0021 00D6311A
	v_perm_b32 v34, v27, v25, s52                              // 000000004A64: D1ED0022 00D2331B
	v_perm_b32 v35, v27, v25, s53                              // 000000004A6C: D1ED0023 00D6331B
	v_perm_b32 v29, v34, v32, s54                              // 000000004A74: D1ED001D 00DA4122
	v_perm_b32 v37, v34, v32, s55                              // 000000004A7C: D1ED0025 00DE4122
	v_perm_b32 v31, v35, v33, s54                              // 000000004A84: D1ED001F 00DA4323
	v_perm_b32 v39, v35, v33, s55                              // 000000004A8C: D1ED0027 00DE4323
	v_mfma_f32_16x16x32_fp8_fp8 v[196:199], a[92:93], v[42:43], v[196:199]// 000000004A94: D3F300C4 0F12555C
	v_mfma_f32_16x16x32_fp8_fp8 v[200:203], a[94:95], v[42:43], v[200:203]// 000000004A9C: D3F300C8 0F22555E
	ds_write_b128 v6, v[28:31] offset:37120                    // 000000004AA4: D9BE9100 00001C06
	v_mfma_f32_16x16x32_fp8_fp8 v[204:207], a[96:97], v[42:43], v[204:207]// 000000004AAC: D3F300CC 0F325560
	v_mfma_f32_16x16x32_fp8_fp8 v[208:211], a[98:99], v[42:43], v[208:211]// 000000004AB4: D3F300D0 0F425562
	ds_write_b128 v6, v[36:39] offset:38144                    // 000000004ABC: D9BE9500 00002406
	v_mfma_f32_16x16x32_fp8_fp8 v[212:215], a[100:101], v[42:43], v[212:215]// 000000004AC4: D3F300D4 0F525564
	v_mfma_f32_16x16x32_fp8_fp8 v[216:219], a[102:103], v[42:43], v[216:219]// 000000004ACC: D3F300D8 0F625566
	v_mfma_f32_16x16x32_fp8_fp8 v[220:223], a[104:105], v[42:43], v[220:223]// 000000004AD4: D3F300DC 0F725568
	v_mfma_f32_16x16x32_fp8_fp8 v[224:227], a[106:107], v[42:43], v[224:227]// 000000004ADC: D3F300E0 0F82556A
	ds_read_b32 v20, v5 offset:19584                           // 000000004AE4: D86C4C80 14000005
	ds_read_b32 v21, v5 offset:24224                           // 000000004AEC: D86C5EA0 15000005
	ds_read_b32 v22, v5 offset:28864                           // 000000004AF4: D86C70C0 16000005
	ds_read_b32 v23, v5 offset:33504                           // 000000004AFC: D86C82E0 17000005
	v_mfma_f32_16x16x32_fp8_fp8 v[228:231], a[108:109], v[42:43], v[228:231]// 000000004B04: D3F300E4 0F92556C
	v_mfma_f32_16x16x32_fp8_fp8 v[232:235], a[110:111], v[42:43], v[232:235]// 000000004B0C: D3F300E8 0FA2556E
	ds_read_b32 v24, v5 offset:19712                           // 000000004B14: D86C4D00 18000005
	ds_read_b32 v25, v5 offset:24352                           // 000000004B1C: D86C5F20 19000005
	ds_read_b32 v26, v5 offset:28992                           // 000000004B24: D86C7140 1A000005
	ds_read_b32 v27, v5 offset:33632                           // 000000004B2C: D86C8360 1B000005
	v_mfma_f32_16x16x32_fp8_fp8 v[236:239], a[112:113], v[42:43], v[236:239]// 000000004B34: D3F300EC 0FB25570
	v_mfma_f32_16x16x32_fp8_fp8 v[240:243], a[114:115], v[42:43], v[240:243]// 000000004B3C: D3F300F0 0FC25572
	ds_read_b128 a[80:83], v4 offset:19072                     // 000000004B44: DBFE4A80 50000004
	ds_read_b128 a[84:87], v4 offset:19328                     // 000000004B4C: DBFE4B80 54000004
	v_mfma_f32_16x16x32_fp8_fp8 v[244:247], a[116:117], v[42:43], v[244:247]// 000000004B54: D3F300F4 0FD25574
	v_mfma_f32_16x16x32_fp8_fp8 v[248:251], a[118:119], v[42:43], v[248:251]// 000000004B5C: D3F300F8 0FE25576
	v_mfma_f32_16x16x32_fp8_fp8 v[252:255], a[120:121], v[42:43], v[252:255]// 000000004B64: D3F300FC 0FF25578
	v_mfma_f32_16x16x32_fp8_fp8 a[172:175], a[122:123], v[42:43], a[172:175]// 000000004B6C: D3F380AC 0EB2557A
	ds_read_b128 a[88:91], v4 offset:19584                     // 000000004B74: DBFE4C80 58000004
	ds_read_b128 a[92:95], v4 offset:19840                     // 000000004B7C: DBFE4D80 5C000004
	v_mfma_f32_16x16x32_fp8_fp8 a[176:179], a[124:125], v[42:43], a[176:179]// 000000004B84: D3F380B0 0EC2557C
	v_mfma_f32_16x16x32_fp8_fp8 a[180:183], a[126:127], v[42:43], a[180:183]// 000000004B8C: D3F380B4 0ED2557E
	v_mfma_f32_16x16x32_fp8_fp8 a[184:187], a[128:129], v[42:43], a[184:187]// 000000004B94: D3F380B8 0EE25580
	v_mfma_f32_16x16x32_fp8_fp8 a[188:191], a[130:131], v[42:43], a[188:191]// 000000004B9C: D3F380BC 0EF25582
	ds_read_b128 a[96:99], v4 offset:20096                     // 000000004BA4: DBFE4E80 60000004
	ds_read_b128 a[100:103], v4 offset:20352                   // 000000004BAC: DBFE4F80 64000004
	v_mfma_f32_16x16x32_fp8_fp8 a[192:195], a[132:133], v[42:43], a[192:195]// 000000004BB4: D3F380C0 0F025584
	v_mfma_f32_16x16x32_fp8_fp8 a[196:199], a[134:135], v[42:43], a[196:199]// 000000004BBC: D3F380C4 0F125586
	s_nop 0                                                    // 000000004BC4: BF800000
	s_addk_i32 s70, 0x1                                        // 000000004BC8: B7460001
	s_cmp_lt_i32 s70, s71                                      // 000000004BCC: BF044746
	s_cbranch_scc0 label_0ED6                                  // 000000004BD0: BF8404A1
	s_waitcnt lgkmcnt(4)                                       // 000000004BD4: BF8CC47F
	v_mfma_f32_16x16x32_fp8_fp8 v[40:43], a[72:73], a[0:1], 0  // 000000004BD8: D3F30028 1A020148
	ds_read_b128 a[104:107], v4 offset:20608                   // 000000004BE0: DBFE5080 68000004
	ds_read_b128 a[108:111], v4 offset:18688                   // 000000004BE8: DBFE4900 6C000004
	v_mfma_f32_16x16x32_fp8_fp8 v[40:43], a[74:75], a[2:3], v[40:43]// 000000004BF0: D3F30028 1CA2054A
	buffer_load_dword v11, v8, s[24:27], 0 offen               // 000000004BF8: E0501000 80060B08
	v_mfma_f32_16x16x32_fp8_fp8 v[40:43], a[76:77], a[4:5], v[40:43]// 000000004C00: D3F30028 1CA2094C
	v_mfma_f32_16x16x32_fp8_fp8 v[40:43], a[78:79], a[6:7], v[40:43]// 000000004C08: D3F30028 1CA20D4E
	v_mfma_f32_16x16x32_fp8_fp8 v[40:43], a[80:81], a[8:9], v[40:43]// 000000004C10: D3F30028 1CA21150
	ds_read_b128 a[112:115], v4 offset:18944                   // 000000004C18: DBFE4A00 70000004
	ds_read_b128 a[116:119], v4 offset:19200                   // 000000004C20: DBFE4B00 74000004
	v_mfma_f32_16x16x32_fp8_fp8 v[40:43], a[82:83], a[10:11], v[40:43]// 000000004C28: D3F30028 1CA21552
	v_mfma_f32_16x16x32_fp8_fp8 v[40:43], a[84:85], a[12:13], v[40:43]// 000000004C30: D3F30028 1CA21954
	v_mfma_f32_16x16x32_fp8_fp8 v[40:43], a[86:87], a[14:15], v[40:43]// 000000004C38: D3F30028 1CA21D56
	s_waitcnt lgkmcnt(4)                                       // 000000004C40: BF8CC47F
	v_mfma_f32_16x16x32_fp8_fp8 v[40:43], a[88:89], a[16:17], v[40:43]// 000000004C44: D3F30028 1CA22158
	ds_read_b128 a[120:123], v4 offset:19456                   // 000000004C4C: DBFE4C00 78000004
	ds_read_b128 a[124:127], v4 offset:19712                   // 000000004C54: DBFE4D00 7C000004
	v_mfma_f32_16x16x32_fp8_fp8 v[40:43], a[90:91], a[18:19], v[40:43]// 000000004C5C: D3F30028 1CA2255A
	v_mfma_f32_16x16x32_fp8_fp8 v[40:43], a[92:93], a[20:21], v[40:43]// 000000004C64: D3F30028 1CA2295C
	v_mfma_f32_16x16x32_fp8_fp8 v[40:43], a[94:95], a[22:23], v[40:43]// 000000004C6C: D3F30028 1CA22D5E
	v_mfma_f32_16x16x32_fp8_fp8 v[40:43], a[96:97], a[24:25], v[40:43]// 000000004C74: D3F30028 1CA23160
	ds_read_b128 a[128:131], v4 offset:19968                   // 000000004C7C: DBFE4E00 80000004
	ds_read_b128 a[132:135], v4 offset:20224                   // 000000004C84: DBFE4F00 84000004
	v_mfma_f32_16x16x32_fp8_fp8 v[40:43], a[98:99], a[26:27], v[40:43]// 000000004C8C: D3F30028 1CA23562
	v_mfma_f32_16x16x32_fp8_fp8 v[40:43], a[100:101], a[28:29], v[40:43]// 000000004C94: D3F30028 1CA23964
	v_mfma_f32_16x16x32_fp8_fp8 v[40:43], a[102:103], a[30:31], v[40:43]// 000000004C9C: D3F30028 1CA23D66
	s_waitcnt lgkmcnt(4)                                       // 000000004CA4: BF8CC47F
	s_barrier                                                  // 000000004CA8: BF8A0000
	v_mfma_f32_16x16x32_fp8_fp8 v[40:43], a[104:105], a[32:33], v[40:43]// 000000004CAC: D3F30028 1CA24168
	ds_read_b128 a[136:139], v4 offset:20480                   // 000000004CB4: DBFE5000 88000004
	ds_read_b128 a[140:143], v4 offset:20736                   // 000000004CBC: DBFE5100 8C000004
	v_mfma_f32_16x16x32_fp8_fp8 v[40:43], a[106:107], a[34:35], v[40:43]// 000000004CC4: D3F30028 1CA2456A
	v_mfma_f32_16x16x32_fp8_fp8 v[44:47], a[108:109], a[0:1], 0// 000000004CCC: D3F3002C 1A02016C
	v_perm_b32 v32, v22, v20, s52                              // 000000004CD4: D1ED0020 00D22916
	v_perm_b32 v33, v22, v20, s53                              // 000000004CDC: D1ED0021 00D62916
	v_perm_b32 v34, v23, v21, s52                              // 000000004CE4: D1ED0022 00D22B17
	v_perm_b32 v35, v23, v21, s53                              // 000000004CEC: D1ED0023 00D62B17
	v_perm_b32 v28, v34, v32, s54                              // 000000004CF4: D1ED001C 00DA4122
	v_perm_b32 v36, v34, v32, s55                              // 000000004CFC: D1ED0024 00DE4122
	v_perm_b32 v30, v35, v33, s54                              // 000000004D04: D1ED001E 00DA4323
	v_perm_b32 v38, v35, v33, s55                              // 000000004D0C: D1ED0026 00DE4323
	v_mfma_f32_16x16x32_fp8_fp8 v[44:47], a[110:111], a[2:3], v[44:47]// 000000004D14: D3F3002C 1CB2056E
	buffer_load_dword v18, s[20:23], 0 offen lds               // 000000004D1C: E0511000 80050012
	s_add_u32 m0, 0, s37                                       // 000000004D24: 807C2580
	v_mfma_f32_16x16x32_fp8_fp8 v[44:47], a[112:113], a[4:5], v[44:47]// 000000004D28: D3F3002C 1CB20970
	v_perm_b32 v32, v26, v24, s52                              // 000000004D30: D1ED0020 00D2311A
	v_perm_b32 v33, v26, v24, s53                              // 000000004D38: D1ED0021 00D6311A
	v_perm_b32 v34, v27, v25, s52                              // 000000004D40: D1ED0022 00D2331B
	v_perm_b32 v35, v27, v25, s53                              // 000000004D48: D1ED0023 00D6331B
	v_perm_b32 v29, v34, v32, s54                              // 000000004D50: D1ED001D 00DA4122
	v_perm_b32 v37, v34, v32, s55                              // 000000004D58: D1ED0025 00DE4122
	v_perm_b32 v31, v35, v33, s54                              // 000000004D60: D1ED001F 00DA4323
	v_perm_b32 v39, v35, v33, s55                              // 000000004D68: D1ED0027 00DE4323
	v_mfma_f32_16x16x32_fp8_fp8 v[44:47], a[114:115], a[6:7], v[44:47]// 000000004D70: D3F3002C 1CB20D72
	buffer_load_dword v19, s[20:23], 0 offen lds               // 000000004D78: E0511000 80050013
	s_add_u32 m0, 0xc0, s36                                    // 000000004D80: 807C24FF 000000C0
	v_mfma_f32_16x16x32_fp8_fp8 v[44:47], a[116:117], a[8:9], v[44:47]// 000000004D88: D3F3002C 1CB21174
	ds_write_b128 v6, v[28:31] offset:45312                    // 000000004D90: D9BEB100 00001C06
	v_mfma_f32_16x16x32_fp8_fp8 v[44:47], a[118:119], a[10:11], v[44:47]// 000000004D98: D3F3002C 1CB21576
	buffer_load_dword v18, s[20:23], 0 offen offset:64 lds     // 000000004DA0: E0511040 80050012
	s_add_u32 m0, 0xc0, s37                                    // 000000004DA8: 807C25FF 000000C0
	s_waitcnt lgkmcnt(1)                                       // 000000004DB0: BF8CC17F
	v_mfma_f32_16x16x32_fp8_fp8 v[44:47], a[120:121], a[12:13], v[44:47]// 000000004DB4: D3F3002C 1CB21978
	ds_write_b128 v6, v[36:39] offset:46336                    // 000000004DBC: D9BEB500 00002406
	v_mfma_f32_16x16x32_fp8_fp8 v[44:47], a[122:123], a[14:15], v[44:47]// 000000004DC4: D3F3002C 1CB21D7A
	buffer_load_dword v19, s[20:23], 0 offen offset:64 lds     // 000000004DCC: E0511040 80050013
	s_add_u32 m0, 0x180, s36                                   // 000000004DD4: 807C24FF 00000180
	v_mfma_f32_16x16x32_fp8_fp8 v[44:47], a[124:125], a[16:17], v[44:47]// 000000004DDC: D3F3002C 1CB2217C
	v_mfma_f32_16x16x32_fp8_fp8 v[44:47], a[126:127], a[18:19], v[44:47]// 000000004DE4: D3F3002C 1CB2257E
	buffer_load_dword v18, s[20:23], 0 offen offset:128 lds    // 000000004DEC: E0511080 80050012
	s_add_u32 m0, 0x180, s37                                   // 000000004DF4: 807C25FF 00000180
	v_mfma_f32_16x16x32_fp8_fp8 v[44:47], a[128:129], a[20:21], v[44:47]// 000000004DFC: D3F3002C 1CB22980
	v_mfma_f32_16x16x32_fp8_fp8 v[44:47], a[130:131], a[22:23], v[44:47]// 000000004E04: D3F3002C 1CB22D82
	buffer_load_dword v19, s[20:23], 0 offen offset:128 lds    // 000000004E0C: E0511080 80050013
	s_add_u32 m0, 0x240, s36                                   // 000000004E14: 807C24FF 00000240
	v_mfma_f32_16x16x32_fp8_fp8 v[44:47], a[132:133], a[24:25], v[44:47]// 000000004E1C: D3F3002C 1CB23184
	v_mfma_f32_16x16x32_fp8_fp8 v[44:47], a[134:135], a[26:27], v[44:47]// 000000004E24: D3F3002C 1CB23586
	buffer_load_dword v18, s[20:23], 0 offen offset:192 lds    // 000000004E2C: E05110C0 80050012
	s_add_u32 m0, 0x240, s37                                   // 000000004E34: 807C25FF 00000240
	v_mfma_f32_16x16x32_fp8_fp8 v[44:47], a[136:137], a[28:29], v[44:47]// 000000004E3C: D3F3002C 1CB23988
	v_mfma_f32_16x16x32_fp8_fp8 v[44:47], a[138:139], a[30:31], v[44:47]// 000000004E44: D3F3002C 1CB23D8A
	buffer_load_dword v19, s[20:23], 0 offen offset:192 lds    // 000000004E4C: E05110C0 80050013
	s_add_u32 m0, 0x300, s36                                   // 000000004E54: 807C24FF 00000300
	v_mfma_f32_16x16x32_fp8_fp8 v[44:47], a[140:141], a[32:33], v[44:47]// 000000004E5C: D3F3002C 1CB2418C
	v_mfma_f32_16x16x32_fp8_fp8 v[44:47], a[142:143], a[34:35], v[44:47]// 000000004E64: D3F3002C 1CB2458E
	buffer_load_dword v18, s[20:23], 0 offen offset:256 lds    // 000000004E6C: E0511100 80050012
	s_add_u32 m0, 0x300, s37                                   // 000000004E74: 807C25FF 00000300
	v_add_u32_e32 v8, s73, v8                                  // 000000004E7C: 68101049
	s_waitcnt lgkmcnt(0)                                       // 000000004E80: BF8CC07F
	s_barrier                                                  // 000000004E84: BF8A0000
	v_mfma_f32_16x16x32_fp8_fp8 v[48:51], a[72:73], a[36:37], 0// 000000004E88: D3F30030 1A024948
	v_mfma_f32_16x16x32_fp8_fp8 v[48:51], a[74:75], a[38:39], v[48:51]// 000000004E90: D3F30030 1CC24D4A
	v_max3_f32 v24, v40, v41, v40                              // 000000004E98: D1D30018 04A25328
	v_max3_f32 v24, v42, v43, v24                              // 000000004EA0: D1D30018 0462572A
	v_max3_f32 v24, v44, v45, v24                              // 000000004EA8: D1D30018 04625B2C
	v_max3_f32 v24, v46, v47, v24                              // 000000004EB0: D1D30018 04625F2E
	ds_write_b32 v3, v24 offset:53504                          // 000000004EB8: D81AD100 00001803
	v_mfma_f32_16x16x32_fp8_fp8 v[48:51], a[76:77], a[40:41], v[48:51]// 000000004EC0: D3F30030 1CC2514C
	v_mfma_f32_16x16x32_fp8_fp8 v[48:51], a[78:79], a[42:43], v[48:51]// 000000004EC8: D3F30030 1CC2554E
	buffer_load_dword v19, s[20:23], 0 offen offset:256 lds    // 000000004ED0: E0511100 80050013
	s_add_u32 m0, 0x3c0, s36                                   // 000000004ED8: 807C24FF 000003C0
	v_mfma_f32_16x16x32_fp8_fp8 v[48:51], a[80:81], a[44:45], v[48:51]// 000000004EE0: D3F30030 1CC25950
	v_mfma_f32_16x16x32_fp8_fp8 v[48:51], a[82:83], a[46:47], v[48:51]// 000000004EE8: D3F30030 1CC25D52
	buffer_load_dword v18, s[20:23], 0 offen offset:320 lds    // 000000004EF0: E0511140 80050012
	s_add_u32 m0, 0x3c0, s37                                   // 000000004EF8: 807C25FF 000003C0
	v_mfma_f32_16x16x32_fp8_fp8 v[48:51], a[84:85], a[48:49], v[48:51]// 000000004F00: D3F30030 1CC26154
	s_waitcnt lgkmcnt(0)                                       // 000000004F08: BF8CC07F
	ds_read_b32 v20, v2 offset:53504                           // 000000004F0C: D86CD100 14000002
	ds_read_b32 v21, v2 offset:53568                           // 000000004F14: D86CD140 15000002
	v_mfma_f32_16x16x32_fp8_fp8 v[48:51], a[86:87], a[50:51], v[48:51]// 000000004F1C: D3F30030 1CC26556
	ds_read_b32 v22, v2 offset:53632                           // 000000004F24: D86CD180 16000002
	ds_read_b32 v23, v2 offset:53696                           // 000000004F2C: D86CD1C0 17000002
	v_mfma_f32_16x16x32_fp8_fp8 v[48:51], a[88:89], a[52:53], v[48:51]// 000000004F34: D3F30030 1CC26958
	v_mfma_f32_16x16x32_fp8_fp8 v[48:51], a[90:91], a[54:55], v[48:51]// 000000004F3C: D3F30030 1CC26D5A
	buffer_load_dword v19, s[20:23], 0 offen offset:320 lds    // 000000004F44: E0511140 80050013
	s_add_u32 m0, 0x480, s36                                   // 000000004F4C: 807C24FF 00000480
	v_mfma_f32_16x16x32_fp8_fp8 v[48:51], a[92:93], a[56:57], v[48:51]// 000000004F54: D3F30030 1CC2715C
	v_mfma_f32_16x16x32_fp8_fp8 v[48:51], a[94:95], a[58:59], v[48:51]// 000000004F5C: D3F30030 1CC2755E
	buffer_load_dword v18, s[20:23], 0 offen offset:384 lds    // 000000004F64: E0511180 80050012
	s_add_u32 m0, 0x480, s37                                   // 000000004F6C: 807C25FF 00000480
	v_mfma_f32_16x16x32_fp8_fp8 v[48:51], a[96:97], a[60:61], v[48:51]// 000000004F74: D3F30030 1CC27960
	v_mfma_f32_16x16x32_fp8_fp8 v[48:51], a[98:99], a[62:63], v[48:51]// 000000004F7C: D3F30030 1CC27D62
	buffer_load_dword v19, s[20:23], 0 offen offset:384 lds    // 000000004F84: E0511180 80050013
	s_add_u32 m0, 0x540, s36                                   // 000000004F8C: 807C24FF 00000540
	v_mfma_f32_16x16x32_fp8_fp8 v[48:51], a[100:101], a[64:65], v[48:51]// 000000004F94: D3F30030 1CC28164
	s_waitcnt lgkmcnt(0)                                       // 000000004F9C: BF8CC07F
	v_max3_f32 v24, v20, v21, v24                              // 000000004FA0: D1D30018 04622B14
	v_max3_f32 v24, v22, v23, v24                              // 000000004FA8: D1D30018 04622F16
	v_mfma_f32_16x16x32_fp8_fp8 v[48:51], a[102:103], a[66:67], v[48:51]// 000000004FB0: D3F30030 1CC28566
	v_mfma_f32_16x16x32_fp8_fp8 v[48:51], a[104:105], a[68:69], v[48:51]// 000000004FB8: D3F30030 1CC28968
	v_mfma_f32_16x16x32_fp8_fp8 v[48:51], a[106:107], a[70:71], v[48:51]// 000000004FC0: D3F30030 1CC28D6A
	buffer_load_dword v18, s[20:23], 0 offen offset:448 lds    // 000000004FC8: E05111C0 80050012
	s_add_u32 m0, 0x540, s37                                   // 000000004FD0: 807C25FF 00000540
	v_mfma_f32_16x16x32_fp8_fp8 v[52:55], a[108:109], a[36:37], 0// 000000004FD8: D3F30034 1A02496C
	v_mfma_f32_16x16x32_fp8_fp8 v[52:55], a[110:111], a[38:39], v[52:55]// 000000004FE0: D3F30034 1CD24D6E
	buffer_load_dword v19, s[20:23], 0 offen offset:448 lds    // 000000004FE8: E05111C0 80050013
	s_add_u32 m0, 0x600, s36                                   // 000000004FF0: 807C24FF 00000600
	v_mfma_f32_16x16x32_fp8_fp8 v[52:55], a[112:113], a[40:41], v[52:55]// 000000004FF8: D3F30034 1CD25170
	ds_read_b128 a[72:75], v7 offset:37120                     // 000000005000: DBFE9100 48000007
	ds_read_b128 a[76:79], v7 offset:38144                     // 000000005008: DBFE9500 4C000007
	v_mfma_f32_16x16x32_fp8_fp8 v[52:55], a[114:115], a[42:43], v[52:55]// 000000005010: D3F30034 1CD25572
	buffer_load_dword v18, s[20:23], 0 offen offset:512 lds    // 000000005018: E0511200 80050012
	s_add_u32 m0, 0x600, s37                                   // 000000005020: 807C25FF 00000600
	v_mfma_f32_16x16x32_fp8_fp8 v[52:55], a[116:117], a[44:45], v[52:55]// 000000005028: D3F30034 1CD25974
	v_mfma_f32_16x16x32_fp8_fp8 v[52:55], a[118:119], a[46:47], v[52:55]// 000000005030: D3F30034 1CD25D76
	v_mfma_f32_16x16x32_fp8_fp8 v[52:55], a[120:121], a[48:49], v[52:55]// 000000005038: D3F30034 1CD26178
	ds_read_b128 a[80:83], v7 offset:39168                     // 000000005040: DBFE9900 50000007
	ds_read_b128 a[84:87], v7 offset:40192                     // 000000005048: DBFE9D00 54000007
	v_mfma_f32_16x16x32_fp8_fp8 v[52:55], a[122:123], a[50:51], v[52:55]// 000000005050: D3F30034 1CD2657A
	buffer_load_dword v19, s[20:23], 0 offen offset:512 lds    // 000000005058: E0511200 80050013
	s_add_u32 m0, 0x6c0, s36                                   // 000000005060: 807C24FF 000006C0
	v_mfma_f32_16x16x32_fp8_fp8 v[52:55], a[124:125], a[52:53], v[52:55]// 000000005068: D3F30034 1CD2697C
	v_mfma_f32_16x16x32_fp8_fp8 v[52:55], a[126:127], a[54:55], v[52:55]// 000000005070: D3F30034 1CD26D7E
	v_mfma_f32_16x16x32_fp8_fp8 v[52:55], a[128:129], a[56:57], v[52:55]// 000000005078: D3F30034 1CD27180
	ds_read_b128 a[88:91], v7 offset:41216                     // 000000005080: DBFEA100 58000007
	ds_read_b128 a[92:95], v7 offset:42240                     // 000000005088: DBFEA500 5C000007
	v_mfma_f32_16x16x32_fp8_fp8 v[52:55], a[130:131], a[58:59], v[52:55]// 000000005090: D3F30034 1CD27582
	v_mfma_f32_16x16x32_fp8_fp8 v[52:55], a[132:133], a[60:61], v[52:55]// 000000005098: D3F30034 1CD27984
	v_mfma_f32_16x16x32_fp8_fp8 v[52:55], a[134:135], a[62:63], v[52:55]// 0000000050A0: D3F30034 1CD27D86
	v_mfma_f32_16x16x32_fp8_fp8 v[52:55], a[136:137], a[64:65], v[52:55]// 0000000050A8: D3F30034 1CD28188
	ds_read_b128 a[96:99], v7 offset:43264                     // 0000000050B0: DBFEA900 60000007
	ds_read_b128 a[100:103], v7 offset:44288                   // 0000000050B8: DBFEAD00 64000007
	v_mfma_f32_16x16x32_fp8_fp8 v[52:55], a[138:139], a[66:67], v[52:55]// 0000000050C0: D3F30034 1CD2858A
	v_mfma_f32_16x16x32_fp8_fp8 v[52:55], a[140:141], a[68:69], v[52:55]// 0000000050C8: D3F30034 1CD2898C
	v_mfma_f32_16x16x32_fp8_fp8 v[52:55], a[142:143], a[70:71], v[52:55]// 0000000050D0: D3F30034 1CD28D8E
	v_mov_b32_e32 v25, 0xff7fffff                              // 0000000050D8: 7E3202FF FF7FFFFF
	v_cmp_eq_u32_e64 s[38:39], v25, v12                        // 0000000050E0: D0CA0026 00021919
	v_max_f32_e32 v20, v24, v12                                // 0000000050E8: 16281918
	v_sub_f32_e32 v16, v12, v20                                // 0000000050EC: 0420290C
	v_cndmask_b32_e64 v16, v16, 0, s[38:39]                    // 0000000050F0: D1000010 00990110
	v_mov_b32_e32 v12, v20                                     // 0000000050F8: 7E180314
	v_mul_f32_e32 v21, s5, v20                                 // 0000000050FC: 0A2A2805
	v_mul_f32_e32 v16, s5, v16                                 // 000000005100: 0A202005
	v_exp_f32_e32 v16, v16                                     // 000000005104: 7E204110
	v_fma_f32 v40, v40, s5, -v21                               // 000000005108: D1CB0028 84540B28
	v_fma_f32 v41, v41, s5, -v21                               // 000000005110: D1CB0029 84540B29
	v_fma_f32 v42, v42, s5, -v21                               // 000000005118: D1CB002A 84540B2A
	v_fma_f32 v43, v43, s5, -v21                               // 000000005120: D1CB002B 84540B2B
	v_fma_f32 v44, v44, s5, -v21                               // 000000005128: D1CB002C 84540B2C
	v_fma_f32 v45, v45, s5, -v21                               // 000000005130: D1CB002D 84540B2D
	v_fma_f32 v46, v46, s5, -v21                               // 000000005138: D1CB002E 84540B2E
	v_fma_f32 v47, v47, s5, -v21                               // 000000005140: D1CB002F 84540B2F
	v_exp_f32_e32 v40, v40                                     // 000000005148: 7E504128
	v_exp_f32_e32 v41, v41                                     // 00000000514C: 7E524129
	v_exp_f32_e32 v42, v42                                     // 000000005150: 7E54412A
	v_exp_f32_e32 v43, v43                                     // 000000005154: 7E56412B
	v_exp_f32_e32 v44, v44                                     // 000000005158: 7E58412C
	v_exp_f32_e32 v45, v45                                     // 00000000515C: 7E5A412D
	v_exp_f32_e32 v46, v46                                     // 000000005160: 7E5C412E
	v_exp_f32_e32 v47, v47                                     // 000000005164: 7E5E412F
	v_mul_f32_e32 v14, v16, v14                                // 000000005168: 0A1C1D10
	v_mov_b32_e32 v22, v40                                     // 00000000516C: 7E2C0328
	v_add_f32_e32 v22, v41, v22                                // 000000005170: 022C2D29
	v_add_f32_e32 v22, v42, v22                                // 000000005174: 022C2D2A
	v_add_f32_e32 v22, v43, v22                                // 000000005178: 022C2D2B
	v_add_f32_e32 v22, v44, v22                                // 00000000517C: 022C2D2C
	v_add_f32_e32 v22, v45, v22                                // 000000005180: 022C2D2D
	v_add_f32_e32 v22, v46, v22                                // 000000005184: 022C2D2E
	v_add_f32_e32 v22, v47, v22                                // 000000005188: 022C2D2F
	v_add_f32_e32 v14, v22, v14                                // 00000000518C: 021C1D16
	v_cvt_pk_fp8_f32 v40, v40, v41                             // 000000005190: D2A20028 00025328
	v_cvt_pk_fp8_f32 v40, v42, v43 op_sel:[0,0,1]              // 000000005198: D2A24028 0002572A
	v_cvt_pk_fp8_f32 v41, v44, v45                             // 0000000051A0: D2A20029 00025B2C
	v_cvt_pk_fp8_f32 v41, v46, v47 op_sel:[0,0,1]              // 0000000051A8: D2A24029 00025F2E
	s_nop 0                                                    // 0000000051B0: BF800000
	v_mul_u32_u24_dpp v18, v10, v9 row_newbcast:0 row_mask:0xf bank_mask:0xf// 0000000051B4: 102412FA FF01500A
	v_mul_u32_u24_dpp v19, v10, v9 row_newbcast:8 row_mask:0xf bank_mask:0xf// 0000000051BC: 102612FA FF01580A
	v_add_u32_e32 v18, v18, v1                                 // 0000000051C4: 68240312
	v_add_u32_e32 v19, v19, v1                                 // 0000000051C8: 68260313
	s_mov_b32 m0, s34                                          // 0000000051CC: BEFC0022
	v_mov_b32_e32 v22, v16                                     // 0000000051D0: 7E2C0310
	v_mov_b32_e32 v23, v16                                     // 0000000051D4: 7E2E0310
	v_pk_mul_f32 v[56:57], v[22:23], v[56:57]                  // 0000000051D8: D3B14038 18027116
	v_pk_mul_f32 v[58:59], v[22:23], v[58:59]                  // 0000000051E0: D3B1403A 18027516
	v_pk_mul_f32 v[60:61], v[22:23], v[60:61]                  // 0000000051E8: D3B1403C 18027916
	v_pk_mul_f32 v[62:63], v[22:23], v[62:63]                  // 0000000051F0: D3B1403E 18027D16
	v_pk_mul_f32 v[64:65], v[22:23], v[64:65]                  // 0000000051F8: D3B14040 18028116
	v_pk_mul_f32 v[66:67], v[22:23], v[66:67]                  // 000000005200: D3B14042 18028516
	v_pk_mul_f32 v[68:69], v[22:23], v[68:69]                  // 000000005208: D3B14044 18028916
	v_pk_mul_f32 v[70:71], v[22:23], v[70:71]                  // 000000005210: D3B14046 18028D16
	v_pk_mul_f32 v[72:73], v[22:23], v[72:73]                  // 000000005218: D3B14048 18029116
	v_pk_mul_f32 v[74:75], v[22:23], v[74:75]                  // 000000005220: D3B1404A 18029516
	v_pk_mul_f32 v[76:77], v[22:23], v[76:77]                  // 000000005228: D3B1404C 18029916
	v_pk_mul_f32 v[78:79], v[22:23], v[78:79]                  // 000000005230: D3B1404E 18029D16
	v_pk_mul_f32 v[80:81], v[22:23], v[80:81]                  // 000000005238: D3B14050 1802A116
	v_pk_mul_f32 v[82:83], v[22:23], v[82:83]                  // 000000005240: D3B14052 1802A516
	v_pk_mul_f32 v[84:85], v[22:23], v[84:85]                  // 000000005248: D3B14054 1802A916
	v_pk_mul_f32 v[86:87], v[22:23], v[86:87]                  // 000000005250: D3B14056 1802AD16
	v_pk_mul_f32 v[88:89], v[22:23], v[88:89]                  // 000000005258: D3B14058 1802B116
	v_pk_mul_f32 v[90:91], v[22:23], v[90:91]                  // 000000005260: D3B1405A 1802B516
	v_pk_mul_f32 v[92:93], v[22:23], v[92:93]                  // 000000005268: D3B1405C 1802B916
	v_pk_mul_f32 v[94:95], v[22:23], v[94:95]                  // 000000005270: D3B1405E 1802BD16
	v_pk_mul_f32 v[96:97], v[22:23], v[96:97]                  // 000000005278: D3B14060 1802C116
	v_pk_mul_f32 v[98:99], v[22:23], v[98:99]                  // 000000005280: D3B14062 1802C516
	v_pk_mul_f32 v[100:101], v[22:23], v[100:101]              // 000000005288: D3B14064 1802C916
	v_pk_mul_f32 v[102:103], v[22:23], v[102:103]              // 000000005290: D3B14066 1802CD16
	v_pk_mul_f32 v[104:105], v[22:23], v[104:105]              // 000000005298: D3B14068 1802D116
	v_pk_mul_f32 v[106:107], v[22:23], v[106:107]              // 0000000052A0: D3B1406A 1802D516
	v_pk_mul_f32 v[108:109], v[22:23], v[108:109]              // 0000000052A8: D3B1406C 1802D916
	v_pk_mul_f32 v[110:111], v[22:23], v[110:111]              // 0000000052B0: D3B1406E 1802DD16
	v_pk_mul_f32 v[112:113], v[22:23], v[112:113]              // 0000000052B8: D3B14070 1802E116
	v_pk_mul_f32 v[114:115], v[22:23], v[114:115]              // 0000000052C0: D3B14072 1802E516
	v_pk_mul_f32 v[116:117], v[22:23], v[116:117]              // 0000000052C8: D3B14074 1802E916
	v_pk_mul_f32 v[118:119], v[22:23], v[118:119]              // 0000000052D0: D3B14076 1802ED16
	v_pk_mul_f32 v[120:121], v[22:23], v[120:121]              // 0000000052D8: D3B14078 1802F116
	v_pk_mul_f32 v[122:123], v[22:23], v[122:123]              // 0000000052E0: D3B1407A 1802F516
	v_pk_mul_f32 v[124:125], v[22:23], v[124:125]              // 0000000052E8: D3B1407C 1802F916
	v_pk_mul_f32 v[126:127], v[22:23], v[126:127]              // 0000000052F0: D3B1407E 1802FD16
	v_pk_mul_f32 v[128:129], v[22:23], v[128:129]              // 0000000052F8: D3B14080 18030116
	v_pk_mul_f32 v[130:131], v[22:23], v[130:131]              // 000000005300: D3B14082 18030516
	v_pk_mul_f32 v[132:133], v[22:23], v[132:133]              // 000000005308: D3B14084 18030916
	v_pk_mul_f32 v[134:135], v[22:23], v[134:135]              // 000000005310: D3B14086 18030D16
	v_pk_mul_f32 v[136:137], v[22:23], v[136:137]              // 000000005318: D3B14088 18031116
	v_pk_mul_f32 v[138:139], v[22:23], v[138:139]              // 000000005320: D3B1408A 18031516
	v_pk_mul_f32 v[140:141], v[22:23], v[140:141]              // 000000005328: D3B1408C 18031916
	v_pk_mul_f32 v[142:143], v[22:23], v[142:143]              // 000000005330: D3B1408E 18031D16
	v_pk_mul_f32 v[144:145], v[22:23], v[144:145]              // 000000005338: D3B14090 18032116
	v_pk_mul_f32 v[146:147], v[22:23], v[146:147]              // 000000005340: D3B14092 18032516
	v_pk_mul_f32 v[148:149], v[22:23], v[148:149]              // 000000005348: D3B14094 18032916
	v_pk_mul_f32 v[150:151], v[22:23], v[150:151]              // 000000005350: D3B14096 18032D16
	v_pk_mul_f32 v[152:153], v[22:23], v[152:153]              // 000000005358: D3B14098 18033116
	v_pk_mul_f32 v[154:155], v[22:23], v[154:155]              // 000000005360: D3B1409A 18033516
	v_accvgpr_read_b32 v20, a144                               // 000000005368: D3D84014 18000190
	v_accvgpr_read_b32 v21, a145                               // 000000005370: D3D84015 18000191
	v_pk_mul_f32 v[20:21], v[22:23], v[20:21]                  // 000000005378: D3B14014 18022916
	v_accvgpr_write_b32 a144, v20                              // 000000005380: D3D94090 18000114
	v_accvgpr_write_b32 a145, v21                              // 000000005388: D3D94091 18000115
	v_accvgpr_read_b32 v20, a146                               // 000000005390: D3D84014 18000192
	v_accvgpr_read_b32 v21, a147                               // 000000005398: D3D84015 18000193
	v_pk_mul_f32 v[20:21], v[22:23], v[20:21]                  // 0000000053A0: D3B14014 18022916
	v_accvgpr_write_b32 a146, v20                              // 0000000053A8: D3D94092 18000114
	v_accvgpr_write_b32 a147, v21                              // 0000000053B0: D3D94093 18000115
	v_accvgpr_read_b32 v20, a148                               // 0000000053B8: D3D84014 18000194
	v_accvgpr_read_b32 v21, a149                               // 0000000053C0: D3D84015 18000195
	v_pk_mul_f32 v[20:21], v[22:23], v[20:21]                  // 0000000053C8: D3B14014 18022916
	v_accvgpr_write_b32 a148, v20                              // 0000000053D0: D3D94094 18000114
	v_accvgpr_write_b32 a149, v21                              // 0000000053D8: D3D94095 18000115
	v_accvgpr_read_b32 v20, a150                               // 0000000053E0: D3D84014 18000196
	v_accvgpr_read_b32 v21, a151                               // 0000000053E8: D3D84015 18000197
	v_pk_mul_f32 v[20:21], v[22:23], v[20:21]                  // 0000000053F0: D3B14014 18022916
	v_accvgpr_write_b32 a150, v20                              // 0000000053F8: D3D94096 18000114
	v_accvgpr_write_b32 a151, v21                              // 000000005400: D3D94097 18000115
	v_accvgpr_read_b32 v20, a152                               // 000000005408: D3D84014 18000198
	v_accvgpr_read_b32 v21, a153                               // 000000005410: D3D84015 18000199
	v_pk_mul_f32 v[20:21], v[22:23], v[20:21]                  // 000000005418: D3B14014 18022916
	v_accvgpr_write_b32 a152, v20                              // 000000005420: D3D94098 18000114
	v_accvgpr_write_b32 a153, v21                              // 000000005428: D3D94099 18000115
	v_accvgpr_read_b32 v20, a154                               // 000000005430: D3D84014 1800019A
	v_accvgpr_read_b32 v21, a155                               // 000000005438: D3D84015 1800019B
	v_pk_mul_f32 v[20:21], v[22:23], v[20:21]                  // 000000005440: D3B14014 18022916
	v_accvgpr_write_b32 a154, v20                              // 000000005448: D3D9409A 18000114
	v_accvgpr_write_b32 a155, v21                              // 000000005450: D3D9409B 18000115
	v_accvgpr_read_b32 v20, a156                               // 000000005458: D3D84014 1800019C
	v_accvgpr_read_b32 v21, a157                               // 000000005460: D3D84015 1800019D
	v_pk_mul_f32 v[20:21], v[22:23], v[20:21]                  // 000000005468: D3B14014 18022916
	v_accvgpr_write_b32 a156, v20                              // 000000005470: D3D9409C 18000114
	v_accvgpr_write_b32 a157, v21                              // 000000005478: D3D9409D 18000115
	v_accvgpr_read_b32 v20, a158                               // 000000005480: D3D84014 1800019E
	v_accvgpr_read_b32 v21, a159                               // 000000005488: D3D84015 1800019F
	v_pk_mul_f32 v[20:21], v[22:23], v[20:21]                  // 000000005490: D3B14014 18022916
	v_accvgpr_write_b32 a158, v20                              // 000000005498: D3D9409E 18000114
	v_accvgpr_write_b32 a159, v21                              // 0000000054A0: D3D9409F 18000115
	v_accvgpr_read_b32 v20, a160                               // 0000000054A8: D3D84014 180001A0
	v_accvgpr_read_b32 v21, a161                               // 0000000054B0: D3D84015 180001A1
	v_pk_mul_f32 v[20:21], v[22:23], v[20:21]                  // 0000000054B8: D3B14014 18022916
	v_accvgpr_write_b32 a160, v20                              // 0000000054C0: D3D940A0 18000114
	v_accvgpr_write_b32 a161, v21                              // 0000000054C8: D3D940A1 18000115
	v_accvgpr_read_b32 v20, a162                               // 0000000054D0: D3D84014 180001A2
	v_accvgpr_read_b32 v21, a163                               // 0000000054D8: D3D84015 180001A3
	v_pk_mul_f32 v[20:21], v[22:23], v[20:21]                  // 0000000054E0: D3B14014 18022916
	v_accvgpr_write_b32 a162, v20                              // 0000000054E8: D3D940A2 18000114
	v_accvgpr_write_b32 a163, v21                              // 0000000054F0: D3D940A3 18000115
	v_accvgpr_read_b32 v20, a164                               // 0000000054F8: D3D84014 180001A4
	v_accvgpr_read_b32 v21, a165                               // 000000005500: D3D84015 180001A5
	v_pk_mul_f32 v[20:21], v[22:23], v[20:21]                  // 000000005508: D3B14014 18022916
	v_accvgpr_write_b32 a164, v20                              // 000000005510: D3D940A4 18000114
	v_accvgpr_write_b32 a165, v21                              // 000000005518: D3D940A5 18000115
	v_accvgpr_read_b32 v20, a166                               // 000000005520: D3D84014 180001A6
	v_accvgpr_read_b32 v21, a167                               // 000000005528: D3D84015 180001A7
	v_pk_mul_f32 v[20:21], v[22:23], v[20:21]                  // 000000005530: D3B14014 18022916
	v_accvgpr_write_b32 a166, v20                              // 000000005538: D3D940A6 18000114
	v_accvgpr_write_b32 a167, v21                              // 000000005540: D3D940A7 18000115
	v_accvgpr_read_b32 v20, a168                               // 000000005548: D3D84014 180001A8
	v_accvgpr_read_b32 v21, a169                               // 000000005550: D3D84015 180001A9
	v_pk_mul_f32 v[20:21], v[22:23], v[20:21]                  // 000000005558: D3B14014 18022916
	v_accvgpr_write_b32 a168, v20                              // 000000005560: D3D940A8 18000114
	v_accvgpr_write_b32 a169, v21                              // 000000005568: D3D940A9 18000115
	v_accvgpr_read_b32 v20, a170                               // 000000005570: D3D84014 180001AA
	v_accvgpr_read_b32 v21, a171                               // 000000005578: D3D84015 180001AB
	v_pk_mul_f32 v[20:21], v[22:23], v[20:21]                  // 000000005580: D3B14014 18022916
	v_accvgpr_write_b32 a170, v20                              // 000000005588: D3D940AA 18000114
	v_accvgpr_write_b32 a171, v21                              // 000000005590: D3D940AB 18000115
	s_waitcnt lgkmcnt(0)                                       // 000000005598: BF8CC07F
	v_mfma_f32_16x16x32_fp8_fp8 v[56:59], a[72:73], v[40:41], v[56:59]// 00000000559C: D3F30038 0CE25148
	ds_read_b128 a[104:107], v7 offset:45312                   // 0000000055A4: DBFEB100 68000007
	ds_read_b128 a[108:111], v7 offset:46336                   // 0000000055AC: DBFEB500 6C000007
	v_mfma_f32_16x16x32_fp8_fp8 v[60:63], a[74:75], v[40:41], v[60:63]// 0000000055B4: D3F3003C 0CF2514A
	v_mfma_f32_16x16x32_fp8_fp8 v[64:67], a[76:77], v[40:41], v[64:67]// 0000000055BC: D3F30040 0D02514C
	v_mfma_f32_16x16x32_fp8_fp8 v[68:71], a[78:79], v[40:41], v[68:71]// 0000000055C4: D3F30044 0D12514E
	v_mfma_f32_16x16x32_fp8_fp8 v[72:75], a[80:81], v[40:41], v[72:75]// 0000000055CC: D3F30048 0D225150
	ds_read_b128 a[112:115], v7 offset:47360                   // 0000000055D4: DBFEB900 70000007
	ds_read_b128 a[116:119], v7 offset:48384                   // 0000000055DC: DBFEBD00 74000007
	v_mfma_f32_16x16x32_fp8_fp8 v[76:79], a[82:83], v[40:41], v[76:79]// 0000000055E4: D3F3004C 0D325152
	v_mfma_f32_16x16x32_fp8_fp8 v[80:83], a[84:85], v[40:41], v[80:83]// 0000000055EC: D3F30050 0D425154
	v_mfma_f32_16x16x32_fp8_fp8 v[84:87], a[86:87], v[40:41], v[84:87]// 0000000055F4: D3F30054 0D525156
	v_mfma_f32_16x16x32_fp8_fp8 v[88:91], a[88:89], v[40:41], v[88:91]// 0000000055FC: D3F30058 0D625158
	ds_read_b128 a[120:123], v7 offset:49408                   // 000000005604: DBFEC100 78000007
	ds_read_b128 a[124:127], v7 offset:50432                   // 00000000560C: DBFEC500 7C000007
	v_mfma_f32_16x16x32_fp8_fp8 v[92:95], a[90:91], v[40:41], v[92:95]// 000000005614: D3F3005C 0D72515A
	v_mfma_f32_16x16x32_fp8_fp8 v[96:99], a[92:93], v[40:41], v[96:99]// 00000000561C: D3F30060 0D82515C
	v_mfma_f32_16x16x32_fp8_fp8 v[100:103], a[94:95], v[40:41], v[100:103]// 000000005624: D3F30064 0D92515E
	v_mfma_f32_16x16x32_fp8_fp8 v[104:107], a[96:97], v[40:41], v[104:107]// 00000000562C: D3F30068 0DA25160
	ds_read_b128 a[128:131], v7 offset:51456                   // 000000005634: DBFEC900 80000007
	ds_read_b128 a[132:135], v7 offset:52480                   // 00000000563C: DBFECD00 84000007
	v_mfma_f32_16x16x32_fp8_fp8 v[108:111], a[98:99], v[40:41], v[108:111]// 000000005644: D3F3006C 0DB25162
	v_mfma_f32_16x16x32_fp8_fp8 v[112:115], a[100:101], v[40:41], v[112:115]// 00000000564C: D3F30070 0DC25164
	v_mfma_f32_16x16x32_fp8_fp8 v[116:119], a[102:103], v[40:41], v[116:119]// 000000005654: D3F30074 0DD25166
	s_waitcnt lgkmcnt(4)                                       // 00000000565C: BF8CC47F
	v_mfma_f32_16x16x32_fp8_fp8 v[120:123], a[104:105], v[40:41], v[120:123]// 000000005660: D3F30078 0DE25168
	v_max3_f32 v24, v48, v49, v48                              // 000000005668: D1D30018 04C26330
	v_max3_f32 v24, v50, v51, v24                              // 000000005670: D1D30018 04626732
	v_max3_f32 v24, v52, v53, v24                              // 000000005678: D1D30018 04626B34
	v_max3_f32 v24, v54, v55, v24                              // 000000005680: D1D30018 04626F36
	ds_write_b32 v3, v24 offset:54528                          // 000000005688: D81AD500 00001803
	v_mfma_f32_16x16x32_fp8_fp8 v[124:127], a[106:107], v[40:41], v[124:127]// 000000005690: D3F3007C 0DF2516A
	v_mfma_f32_16x16x32_fp8_fp8 v[128:131], a[108:109], v[40:41], v[128:131]// 000000005698: D3F30080 0E02516C
	v_mfma_f32_16x16x32_fp8_fp8 v[132:135], a[110:111], v[40:41], v[132:135]// 0000000056A0: D3F30084 0E12516E
	v_mfma_f32_16x16x32_fp8_fp8 v[136:139], a[112:113], v[40:41], v[136:139]// 0000000056A8: D3F30088 0E225170
	v_mfma_f32_16x16x32_fp8_fp8 v[140:143], a[114:115], v[40:41], v[140:143]// 0000000056B0: D3F3008C 0E325172
	v_mfma_f32_16x16x32_fp8_fp8 v[144:147], a[116:117], v[40:41], v[144:147]// 0000000056B8: D3F30090 0E425174
	v_mfma_f32_16x16x32_fp8_fp8 v[148:151], a[118:119], v[40:41], v[148:151]// 0000000056C0: D3F30094 0E525176
	s_waitcnt lgkmcnt(0)                                       // 0000000056C8: BF8CC07F
	v_mfma_f32_16x16x32_fp8_fp8 v[152:155], a[120:121], v[40:41], v[152:155]// 0000000056CC: D3F30098 0E625178
	s_waitcnt lgkmcnt(0)                                       // 0000000056D4: BF8CC07F
	ds_read_b32 v20, v2 offset:54528                           // 0000000056D8: D86CD500 14000002
	ds_read_b32 v21, v2 offset:54592                           // 0000000056E0: D86CD540 15000002
	v_mfma_f32_16x16x32_fp8_fp8 a[144:147], a[122:123], v[40:41], a[144:147]// 0000000056E8: D3F38090 0E42517A
	ds_read_b32 v22, v2 offset:54656                           // 0000000056F0: D86CD580 16000002
	ds_read_b32 v23, v2 offset:54720                           // 0000000056F8: D86CD5C0 17000002
	v_mfma_f32_16x16x32_fp8_fp8 a[148:151], a[124:125], v[40:41], a[148:151]// 000000005700: D3F38094 0E52517C
	v_mfma_f32_16x16x32_fp8_fp8 a[152:155], a[126:127], v[40:41], a[152:155]// 000000005708: D3F38098 0E62517E
	v_mfma_f32_16x16x32_fp8_fp8 a[156:159], a[128:129], v[40:41], a[156:159]// 000000005710: D3F3809C 0E725180
	v_mfma_f32_16x16x32_fp8_fp8 a[160:163], a[130:131], v[40:41], a[160:163]// 000000005718: D3F380A0 0E825182
	v_mfma_f32_16x16x32_fp8_fp8 a[164:167], a[132:133], v[40:41], a[164:167]// 000000005720: D3F380A4 0E925184
	v_mfma_f32_16x16x32_fp8_fp8 a[168:171], a[134:135], v[40:41], a[168:171]// 000000005728: D3F380A8 0EA25186
	s_waitcnt lgkmcnt(0)                                       // 000000005730: BF8CC07F
	v_max3_f32 v24, v20, v21, v24                              // 000000005734: D1D30018 04622B14
	v_max3_f32 v24, v22, v23, v24                              // 00000000573C: D1D30018 04622F16
	v_mov_b32_e32 v25, 0xff7fffff                              // 000000005744: 7E3202FF FF7FFFFF
	v_cmp_eq_u32_e64 s[38:39], v25, v13                        // 00000000574C: D0CA0026 00021B19
	v_max_f32_e32 v20, v24, v13                                // 000000005754: 16281B18
	v_sub_f32_e32 v17, v13, v20                                // 000000005758: 0422290D
	v_cndmask_b32_e64 v17, v17, 0, s[38:39]                    // 00000000575C: D1000011 00990111
	v_mov_b32_e32 v13, v20                                     // 000000005764: 7E1A0314
	v_mul_f32_e32 v21, s5, v20                                 // 000000005768: 0A2A2805
	v_mul_f32_e32 v17, s5, v17                                 // 00000000576C: 0A222205
	v_exp_f32_e32 v17, v17                                     // 000000005770: 7E224111
	v_fma_f32 v48, v48, s5, -v21                               // 000000005774: D1CB0030 84540B30
	v_fma_f32 v49, v49, s5, -v21                               // 00000000577C: D1CB0031 84540B31
	v_fma_f32 v50, v50, s5, -v21                               // 000000005784: D1CB0032 84540B32
	v_fma_f32 v51, v51, s5, -v21                               // 00000000578C: D1CB0033 84540B33
	v_fma_f32 v52, v52, s5, -v21                               // 000000005794: D1CB0034 84540B34
	v_fma_f32 v53, v53, s5, -v21                               // 00000000579C: D1CB0035 84540B35
	v_fma_f32 v54, v54, s5, -v21                               // 0000000057A4: D1CB0036 84540B36
	v_fma_f32 v55, v55, s5, -v21                               // 0000000057AC: D1CB0037 84540B37
	v_exp_f32_e32 v48, v48                                     // 0000000057B4: 7E604130
	v_exp_f32_e32 v49, v49                                     // 0000000057B8: 7E624131
	v_exp_f32_e32 v50, v50                                     // 0000000057BC: 7E644132
	v_exp_f32_e32 v51, v51                                     // 0000000057C0: 7E664133
	v_exp_f32_e32 v52, v52                                     // 0000000057C4: 7E684134
	v_exp_f32_e32 v53, v53                                     // 0000000057C8: 7E6A4135
	v_exp_f32_e32 v54, v54                                     // 0000000057CC: 7E6C4136
	v_exp_f32_e32 v55, v55                                     // 0000000057D0: 7E6E4137
	v_mul_f32_e32 v15, v17, v15                                // 0000000057D4: 0A1E1F11
	v_mov_b32_e32 v22, v48                                     // 0000000057D8: 7E2C0330
	v_add_f32_e32 v22, v49, v22                                // 0000000057DC: 022C2D31
	v_add_f32_e32 v22, v50, v22                                // 0000000057E0: 022C2D32
	v_add_f32_e32 v22, v51, v22                                // 0000000057E4: 022C2D33
	v_add_f32_e32 v22, v52, v22                                // 0000000057E8: 022C2D34
	v_add_f32_e32 v22, v53, v22                                // 0000000057EC: 022C2D35
	v_add_f32_e32 v22, v54, v22                                // 0000000057F0: 022C2D36
	v_add_f32_e32 v22, v55, v22                                // 0000000057F4: 022C2D37
	v_add_f32_e32 v15, v22, v15                                // 0000000057F8: 021E1F16
	v_cvt_pk_fp8_f32 v42, v48, v49                             // 0000000057FC: D2A2002A 00026330
	v_cvt_pk_fp8_f32 v42, v50, v51 op_sel:[0,0,1]              // 000000005804: D2A2402A 00026732
	v_cvt_pk_fp8_f32 v43, v52, v53                             // 00000000580C: D2A2002B 00026B34
	v_cvt_pk_fp8_f32 v43, v54, v55 op_sel:[0,0,1]              // 000000005814: D2A2402B 00026F36
	s_nop 0                                                    // 00000000581C: BF800000
	v_mov_b32_e32 v22, v17                                     // 000000005820: 7E2C0311
	v_mov_b32_e32 v23, v17                                     // 000000005824: 7E2E0311
	v_pk_mul_f32 v[156:157], v[22:23], v[156:157]              // 000000005828: D3B1409C 18033916
	v_pk_mul_f32 v[158:159], v[22:23], v[158:159]              // 000000005830: D3B1409E 18033D16
	v_pk_mul_f32 v[160:161], v[22:23], v[160:161]              // 000000005838: D3B140A0 18034116
	v_pk_mul_f32 v[162:163], v[22:23], v[162:163]              // 000000005840: D3B140A2 18034516
	v_pk_mul_f32 v[164:165], v[22:23], v[164:165]              // 000000005848: D3B140A4 18034916
	v_pk_mul_f32 v[166:167], v[22:23], v[166:167]              // 000000005850: D3B140A6 18034D16
	v_pk_mul_f32 v[168:169], v[22:23], v[168:169]              // 000000005858: D3B140A8 18035116
	v_pk_mul_f32 v[170:171], v[22:23], v[170:171]              // 000000005860: D3B140AA 18035516
	v_pk_mul_f32 v[172:173], v[22:23], v[172:173]              // 000000005868: D3B140AC 18035916
	v_pk_mul_f32 v[174:175], v[22:23], v[174:175]              // 000000005870: D3B140AE 18035D16
	v_pk_mul_f32 v[176:177], v[22:23], v[176:177]              // 000000005878: D3B140B0 18036116
	v_pk_mul_f32 v[178:179], v[22:23], v[178:179]              // 000000005880: D3B140B2 18036516
	v_pk_mul_f32 v[180:181], v[22:23], v[180:181]              // 000000005888: D3B140B4 18036916
	v_pk_mul_f32 v[182:183], v[22:23], v[182:183]              // 000000005890: D3B140B6 18036D16
	v_pk_mul_f32 v[184:185], v[22:23], v[184:185]              // 000000005898: D3B140B8 18037116
	v_pk_mul_f32 v[186:187], v[22:23], v[186:187]              // 0000000058A0: D3B140BA 18037516
	v_pk_mul_f32 v[188:189], v[22:23], v[188:189]              // 0000000058A8: D3B140BC 18037916
	v_pk_mul_f32 v[190:191], v[22:23], v[190:191]              // 0000000058B0: D3B140BE 18037D16
	v_pk_mul_f32 v[192:193], v[22:23], v[192:193]              // 0000000058B8: D3B140C0 18038116
	v_pk_mul_f32 v[194:195], v[22:23], v[194:195]              // 0000000058C0: D3B140C2 18038516
	v_pk_mul_f32 v[196:197], v[22:23], v[196:197]              // 0000000058C8: D3B140C4 18038916
	v_pk_mul_f32 v[198:199], v[22:23], v[198:199]              // 0000000058D0: D3B140C6 18038D16
	v_pk_mul_f32 v[200:201], v[22:23], v[200:201]              // 0000000058D8: D3B140C8 18039116
	v_pk_mul_f32 v[202:203], v[22:23], v[202:203]              // 0000000058E0: D3B140CA 18039516
	v_pk_mul_f32 v[204:205], v[22:23], v[204:205]              // 0000000058E8: D3B140CC 18039916
	v_pk_mul_f32 v[206:207], v[22:23], v[206:207]              // 0000000058F0: D3B140CE 18039D16
	v_pk_mul_f32 v[208:209], v[22:23], v[208:209]              // 0000000058F8: D3B140D0 1803A116
	v_pk_mul_f32 v[210:211], v[22:23], v[210:211]              // 000000005900: D3B140D2 1803A516
	v_pk_mul_f32 v[212:213], v[22:23], v[212:213]              // 000000005908: D3B140D4 1803A916
	v_pk_mul_f32 v[214:215], v[22:23], v[214:215]              // 000000005910: D3B140D6 1803AD16
	v_pk_mul_f32 v[216:217], v[22:23], v[216:217]              // 000000005918: D3B140D8 1803B116
	v_pk_mul_f32 v[218:219], v[22:23], v[218:219]              // 000000005920: D3B140DA 1803B516
	v_pk_mul_f32 v[220:221], v[22:23], v[220:221]              // 000000005928: D3B140DC 1803B916
	v_pk_mul_f32 v[222:223], v[22:23], v[222:223]              // 000000005930: D3B140DE 1803BD16
	v_pk_mul_f32 v[224:225], v[22:23], v[224:225]              // 000000005938: D3B140E0 1803C116
	v_pk_mul_f32 v[226:227], v[22:23], v[226:227]              // 000000005940: D3B140E2 1803C516
	v_pk_mul_f32 v[228:229], v[22:23], v[228:229]              // 000000005948: D3B140E4 1803C916
	v_pk_mul_f32 v[230:231], v[22:23], v[230:231]              // 000000005950: D3B140E6 1803CD16
	v_pk_mul_f32 v[232:233], v[22:23], v[232:233]              // 000000005958: D3B140E8 1803D116
	v_pk_mul_f32 v[234:235], v[22:23], v[234:235]              // 000000005960: D3B140EA 1803D516
	v_pk_mul_f32 v[236:237], v[22:23], v[236:237]              // 000000005968: D3B140EC 1803D916
	v_pk_mul_f32 v[238:239], v[22:23], v[238:239]              // 000000005970: D3B140EE 1803DD16
	v_pk_mul_f32 v[240:241], v[22:23], v[240:241]              // 000000005978: D3B140F0 1803E116
	v_pk_mul_f32 v[242:243], v[22:23], v[242:243]              // 000000005980: D3B140F2 1803E516
	v_pk_mul_f32 v[244:245], v[22:23], v[244:245]              // 000000005988: D3B140F4 1803E916
	v_pk_mul_f32 v[246:247], v[22:23], v[246:247]              // 000000005990: D3B140F6 1803ED16
	v_pk_mul_f32 v[248:249], v[22:23], v[248:249]              // 000000005998: D3B140F8 1803F116
	v_pk_mul_f32 v[250:251], v[22:23], v[250:251]              // 0000000059A0: D3B140FA 1803F516
	v_pk_mul_f32 v[252:253], v[22:23], v[252:253]              // 0000000059A8: D3B140FC 1803F916
	v_pk_mul_f32 v[254:255], v[22:23], v[254:255]              // 0000000059B0: D3B140FE 1803FD16
	v_accvgpr_read_b32 v20, a172                               // 0000000059B8: D3D84014 180001AC
	v_accvgpr_read_b32 v21, a173                               // 0000000059C0: D3D84015 180001AD
	v_pk_mul_f32 v[20:21], v[22:23], v[20:21]                  // 0000000059C8: D3B14014 18022916
	v_accvgpr_write_b32 a172, v20                              // 0000000059D0: D3D940AC 18000114
	v_accvgpr_write_b32 a173, v21                              // 0000000059D8: D3D940AD 18000115
	v_accvgpr_read_b32 v20, a174                               // 0000000059E0: D3D84014 180001AE
	v_accvgpr_read_b32 v21, a175                               // 0000000059E8: D3D84015 180001AF
	v_pk_mul_f32 v[20:21], v[22:23], v[20:21]                  // 0000000059F0: D3B14014 18022916
	v_accvgpr_write_b32 a174, v20                              // 0000000059F8: D3D940AE 18000114
	v_accvgpr_write_b32 a175, v21                              // 000000005A00: D3D940AF 18000115
	v_accvgpr_read_b32 v20, a176                               // 000000005A08: D3D84014 180001B0
	v_accvgpr_read_b32 v21, a177                               // 000000005A10: D3D84015 180001B1
	v_pk_mul_f32 v[20:21], v[22:23], v[20:21]                  // 000000005A18: D3B14014 18022916
	v_accvgpr_write_b32 a176, v20                              // 000000005A20: D3D940B0 18000114
	v_accvgpr_write_b32 a177, v21                              // 000000005A28: D3D940B1 18000115
	v_accvgpr_read_b32 v20, a178                               // 000000005A30: D3D84014 180001B2
	v_accvgpr_read_b32 v21, a179                               // 000000005A38: D3D84015 180001B3
	v_pk_mul_f32 v[20:21], v[22:23], v[20:21]                  // 000000005A40: D3B14014 18022916
	v_accvgpr_write_b32 a178, v20                              // 000000005A48: D3D940B2 18000114
	v_accvgpr_write_b32 a179, v21                              // 000000005A50: D3D940B3 18000115
	v_accvgpr_read_b32 v20, a180                               // 000000005A58: D3D84014 180001B4
	v_accvgpr_read_b32 v21, a181                               // 000000005A60: D3D84015 180001B5
	v_pk_mul_f32 v[20:21], v[22:23], v[20:21]                  // 000000005A68: D3B14014 18022916
	v_accvgpr_write_b32 a180, v20                              // 000000005A70: D3D940B4 18000114
	v_accvgpr_write_b32 a181, v21                              // 000000005A78: D3D940B5 18000115
	v_accvgpr_read_b32 v20, a182                               // 000000005A80: D3D84014 180001B6
	v_accvgpr_read_b32 v21, a183                               // 000000005A88: D3D84015 180001B7
	v_pk_mul_f32 v[20:21], v[22:23], v[20:21]                  // 000000005A90: D3B14014 18022916
	v_accvgpr_write_b32 a182, v20                              // 000000005A98: D3D940B6 18000114
	v_accvgpr_write_b32 a183, v21                              // 000000005AA0: D3D940B7 18000115
	v_accvgpr_read_b32 v20, a184                               // 000000005AA8: D3D84014 180001B8
	v_accvgpr_read_b32 v21, a185                               // 000000005AB0: D3D84015 180001B9
	v_pk_mul_f32 v[20:21], v[22:23], v[20:21]                  // 000000005AB8: D3B14014 18022916
	v_accvgpr_write_b32 a184, v20                              // 000000005AC0: D3D940B8 18000114
	v_accvgpr_write_b32 a185, v21                              // 000000005AC8: D3D940B9 18000115
	v_accvgpr_read_b32 v20, a186                               // 000000005AD0: D3D84014 180001BA
	v_accvgpr_read_b32 v21, a187                               // 000000005AD8: D3D84015 180001BB
	v_pk_mul_f32 v[20:21], v[22:23], v[20:21]                  // 000000005AE0: D3B14014 18022916
	v_accvgpr_write_b32 a186, v20                              // 000000005AE8: D3D940BA 18000114
	v_accvgpr_write_b32 a187, v21                              // 000000005AF0: D3D940BB 18000115
	v_accvgpr_read_b32 v20, a188                               // 000000005AF8: D3D84014 180001BC
	v_accvgpr_read_b32 v21, a189                               // 000000005B00: D3D84015 180001BD
	v_pk_mul_f32 v[20:21], v[22:23], v[20:21]                  // 000000005B08: D3B14014 18022916
	v_accvgpr_write_b32 a188, v20                              // 000000005B10: D3D940BC 18000114
	v_accvgpr_write_b32 a189, v21                              // 000000005B18: D3D940BD 18000115
	v_accvgpr_read_b32 v20, a190                               // 000000005B20: D3D84014 180001BE
	v_accvgpr_read_b32 v21, a191                               // 000000005B28: D3D84015 180001BF
	v_pk_mul_f32 v[20:21], v[22:23], v[20:21]                  // 000000005B30: D3B14014 18022916
	v_accvgpr_write_b32 a190, v20                              // 000000005B38: D3D940BE 18000114
	v_accvgpr_write_b32 a191, v21                              // 000000005B40: D3D940BF 18000115
	v_accvgpr_read_b32 v20, a192                               // 000000005B48: D3D84014 180001C0
	v_accvgpr_read_b32 v21, a193                               // 000000005B50: D3D84015 180001C1
	v_pk_mul_f32 v[20:21], v[22:23], v[20:21]                  // 000000005B58: D3B14014 18022916
	v_accvgpr_write_b32 a192, v20                              // 000000005B60: D3D940C0 18000114
	v_accvgpr_write_b32 a193, v21                              // 000000005B68: D3D940C1 18000115
	v_accvgpr_read_b32 v20, a194                               // 000000005B70: D3D84014 180001C2
	v_accvgpr_read_b32 v21, a195                               // 000000005B78: D3D84015 180001C3
	v_pk_mul_f32 v[20:21], v[22:23], v[20:21]                  // 000000005B80: D3B14014 18022916
	v_accvgpr_write_b32 a194, v20                              // 000000005B88: D3D940C2 18000114
	v_accvgpr_write_b32 a195, v21                              // 000000005B90: D3D940C3 18000115
	v_accvgpr_read_b32 v20, a196                               // 000000005B98: D3D84014 180001C4
	v_accvgpr_read_b32 v21, a197                               // 000000005BA0: D3D84015 180001C5
	v_pk_mul_f32 v[20:21], v[22:23], v[20:21]                  // 000000005BA8: D3B14014 18022916
	v_accvgpr_write_b32 a196, v20                              // 000000005BB0: D3D940C4 18000114
	v_accvgpr_write_b32 a197, v21                              // 000000005BB8: D3D940C5 18000115
	v_accvgpr_read_b32 v20, a198                               // 000000005BC0: D3D84014 180001C6
	v_accvgpr_read_b32 v21, a199                               // 000000005BC8: D3D84015 180001C7
	v_pk_mul_f32 v[20:21], v[22:23], v[20:21]                  // 000000005BD0: D3B14014 18022916
	v_accvgpr_write_b32 a198, v20                              // 000000005BD8: D3D940C6 18000114
	v_accvgpr_write_b32 a199, v21                              // 000000005BE0: D3D940C7 18000115
	s_waitcnt vmcnt(18) lgkmcnt(0)                             // 000000005BE8: BF8C4072
	s_barrier                                                  // 000000005BEC: BF8A0000
	v_mfma_f32_16x16x32_fp8_fp8 v[156:159], a[72:73], v[42:43], v[156:159]// 000000005BF0: D3F3009C 0E725548
	v_mfma_f32_16x16x32_fp8_fp8 v[160:163], a[74:75], v[42:43], v[160:163]// 000000005BF8: D3F300A0 0E82554A
	ds_read_b32 v20, v5                                        // 000000005C00: D86C0000 14000005
	ds_read_b32 v21, v5 offset:4640                            // 000000005C08: D86C1220 15000005
	ds_read_b32 v22, v5 offset:9280                            // 000000005C10: D86C2440 16000005
	ds_read_b32 v23, v5 offset:13920                           // 000000005C18: D86C3660 17000005
	v_mfma_f32_16x16x32_fp8_fp8 v[164:167], a[76:77], v[42:43], v[164:167]// 000000005C20: D3F300A4 0E92554C
	v_mfma_f32_16x16x32_fp8_fp8 v[168:171], a[78:79], v[42:43], v[168:171]// 000000005C28: D3F300A8 0EA2554E
	ds_read_b32 v24, v5 offset:128                             // 000000005C30: D86C0080 18000005
	ds_read_b32 v25, v5 offset:4768                            // 000000005C38: D86C12A0 19000005
	ds_read_b32 v26, v5 offset:9408                            // 000000005C40: D86C24C0 1A000005
	ds_read_b32 v27, v5 offset:14048                           // 000000005C48: D86C36E0 1B000005
	v_mfma_f32_16x16x32_fp8_fp8 v[172:175], a[80:81], v[42:43], v[172:175]// 000000005C50: D3F300AC 0EB25550
	v_mfma_f32_16x16x32_fp8_fp8 v[176:179], a[82:83], v[42:43], v[176:179]// 000000005C58: D3F300B0 0EC25552
	ds_read_b128 a[72:75], v4                                  // 000000005C60: DBFE0000 48000004
	ds_read_b128 a[76:79], v4 offset:256                       // 000000005C68: DBFE0100 4C000004
	v_mfma_f32_16x16x32_fp8_fp8 v[180:183], a[84:85], v[42:43], v[180:183]// 000000005C70: D3F300B4 0ED25554
	v_mfma_f32_16x16x32_fp8_fp8 v[184:187], a[86:87], v[42:43], v[184:187]// 000000005C78: D3F300B8 0EE25556
	s_waitcnt lgkmcnt(2)                                       // 000000005C80: BF8CC27F
	v_perm_b32 v32, v22, v20, s52                              // 000000005C84: D1ED0020 00D22916
	v_perm_b32 v33, v22, v20, s53                              // 000000005C8C: D1ED0021 00D62916
	v_perm_b32 v34, v23, v21, s52                              // 000000005C94: D1ED0022 00D22B17
	v_perm_b32 v35, v23, v21, s53                              // 000000005C9C: D1ED0023 00D62B17
	v_perm_b32 v28, v34, v32, s54                              // 000000005CA4: D1ED001C 00DA4122
	v_perm_b32 v36, v34, v32, s55                              // 000000005CAC: D1ED0024 00DE4122
	v_perm_b32 v30, v35, v33, s54                              // 000000005CB4: D1ED001E 00DA4323
	v_perm_b32 v38, v35, v33, s55                              // 000000005CBC: D1ED0026 00DE4323
	v_mfma_f32_16x16x32_fp8_fp8 v[188:191], a[88:89], v[42:43], v[188:191]// 000000005CC4: D3F300BC 0EF25558
	v_mfma_f32_16x16x32_fp8_fp8 v[192:195], a[90:91], v[42:43], v[192:195]// 000000005CCC: D3F300C0 0F02555A
	v_perm_b32 v32, v26, v24, s52                              // 000000005CD4: D1ED0020 00D2311A
	v_perm_b32 v33, v26, v24, s53                              // 000000005CDC: D1ED0021 00D6311A
	v_perm_b32 v34, v27, v25, s52                              // 000000005CE4: D1ED0022 00D2331B
	v_perm_b32 v35, v27, v25, s53                              // 000000005CEC: D1ED0023 00D6331B
	v_perm_b32 v29, v34, v32, s54                              // 000000005CF4: D1ED001D 00DA4122
	v_perm_b32 v37, v34, v32, s55                              // 000000005CFC: D1ED0025 00DE4122
	v_perm_b32 v31, v35, v33, s54                              // 000000005D04: D1ED001F 00DA4323
	v_perm_b32 v39, v35, v33, s55                              // 000000005D0C: D1ED0027 00DE4323
	v_mfma_f32_16x16x32_fp8_fp8 v[196:199], a[92:93], v[42:43], v[196:199]// 000000005D14: D3F300C4 0F12555C
	v_mfma_f32_16x16x32_fp8_fp8 v[200:203], a[94:95], v[42:43], v[200:203]// 000000005D1C: D3F300C8 0F22555E
	ds_write_b128 v6, v[28:31] offset:37120                    // 000000005D24: D9BE9100 00001C06
	v_mfma_f32_16x16x32_fp8_fp8 v[204:207], a[96:97], v[42:43], v[204:207]// 000000005D2C: D3F300CC 0F325560
	v_mfma_f32_16x16x32_fp8_fp8 v[208:211], a[98:99], v[42:43], v[208:211]// 000000005D34: D3F300D0 0F425562
	ds_write_b128 v6, v[36:39] offset:38144                    // 000000005D3C: D9BE9500 00002406
	v_mfma_f32_16x16x32_fp8_fp8 v[212:215], a[100:101], v[42:43], v[212:215]// 000000005D44: D3F300D4 0F525564
	v_mfma_f32_16x16x32_fp8_fp8 v[216:219], a[102:103], v[42:43], v[216:219]// 000000005D4C: D3F300D8 0F625566
	v_mfma_f32_16x16x32_fp8_fp8 v[220:223], a[104:105], v[42:43], v[220:223]// 000000005D54: D3F300DC 0F725568
	v_mfma_f32_16x16x32_fp8_fp8 v[224:227], a[106:107], v[42:43], v[224:227]// 000000005D5C: D3F300E0 0F82556A
	ds_read_b32 v20, v5 offset:1024                            // 000000005D64: D86C0400 14000005
	ds_read_b32 v21, v5 offset:5664                            // 000000005D6C: D86C1620 15000005
	ds_read_b32 v22, v5 offset:10304                           // 000000005D74: D86C2840 16000005
	ds_read_b32 v23, v5 offset:14944                           // 000000005D7C: D86C3A60 17000005
	v_mfma_f32_16x16x32_fp8_fp8 v[228:231], a[108:109], v[42:43], v[228:231]// 000000005D84: D3F300E4 0F92556C
	v_mfma_f32_16x16x32_fp8_fp8 v[232:235], a[110:111], v[42:43], v[232:235]// 000000005D8C: D3F300E8 0FA2556E
	ds_read_b32 v24, v5 offset:1152                            // 000000005D94: D86C0480 18000005
	ds_read_b32 v25, v5 offset:5792                            // 000000005D9C: D86C16A0 19000005
	ds_read_b32 v26, v5 offset:10432                           // 000000005DA4: D86C28C0 1A000005
	ds_read_b32 v27, v5 offset:15072                           // 000000005DAC: D86C3AE0 1B000005
	v_mfma_f32_16x16x32_fp8_fp8 v[236:239], a[112:113], v[42:43], v[236:239]// 000000005DB4: D3F300EC 0FB25570
	v_mfma_f32_16x16x32_fp8_fp8 v[240:243], a[114:115], v[42:43], v[240:243]// 000000005DBC: D3F300F0 0FC25572
	ds_read_b128 a[80:83], v4 offset:512                       // 000000005DC4: DBFE0200 50000004
	ds_read_b128 a[84:87], v4 offset:768                       // 000000005DCC: DBFE0300 54000004
	v_mfma_f32_16x16x32_fp8_fp8 v[244:247], a[116:117], v[42:43], v[244:247]// 000000005DD4: D3F300F4 0FD25574
	v_mfma_f32_16x16x32_fp8_fp8 v[248:251], a[118:119], v[42:43], v[248:251]// 000000005DDC: D3F300F8 0FE25576
	v_mfma_f32_16x16x32_fp8_fp8 v[252:255], a[120:121], v[42:43], v[252:255]// 000000005DE4: D3F300FC 0FF25578
	v_mfma_f32_16x16x32_fp8_fp8 a[172:175], a[122:123], v[42:43], a[172:175]// 000000005DEC: D3F380AC 0EB2557A
	ds_read_b128 a[88:91], v4 offset:1024                      // 000000005DF4: DBFE0400 58000004
	ds_read_b128 a[92:95], v4 offset:1280                      // 000000005DFC: DBFE0500 5C000004
	v_mfma_f32_16x16x32_fp8_fp8 a[176:179], a[124:125], v[42:43], a[176:179]// 000000005E04: D3F380B0 0EC2557C
	v_mfma_f32_16x16x32_fp8_fp8 a[180:183], a[126:127], v[42:43], a[180:183]// 000000005E0C: D3F380B4 0ED2557E
	v_mfma_f32_16x16x32_fp8_fp8 a[184:187], a[128:129], v[42:43], a[184:187]// 000000005E14: D3F380B8 0EE25580
	v_mfma_f32_16x16x32_fp8_fp8 a[188:191], a[130:131], v[42:43], a[188:191]// 000000005E1C: D3F380BC 0EF25582
	ds_read_b128 a[96:99], v4 offset:1536                      // 000000005E24: DBFE0600 60000004
	ds_read_b128 a[100:103], v4 offset:1792                    // 000000005E2C: DBFE0700 64000004
	v_mfma_f32_16x16x32_fp8_fp8 a[192:195], a[132:133], v[42:43], a[192:195]// 000000005E34: D3F380C0 0F025584
	v_mfma_f32_16x16x32_fp8_fp8 a[196:199], a[134:135], v[42:43], a[196:199]// 000000005E3C: D3F380C4 0F125586
	s_nop 0                                                    // 000000005E44: BF800000
	s_addk_i32 s70, 0x1                                        // 000000005E48: B7460001
	s_cmp_lt_i32 s70, s71                                      // 000000005E4C: BF044746
	s_cbranch_scc0 label_0ED6                                  // 000000005E50: BF840001
	s_branch label_0595                                        // 000000005E54: BF82F6BF

0000000000005e58 <label_0ED6>:
	s_nop 0                                                    // 000000005E58: BF800000
	s_nop 0                                                    // 000000005E5C: BF800000
	s_branch label_181A                                        // 000000005E60: BF820941

0000000000005e64 <label_0ED9>:
	s_waitcnt lgkmcnt(4)                                       // 000000005E64: BF8CC47F
	v_mfma_f32_16x16x32_fp8_fp8 v[40:43], a[72:73], a[0:1], 0  // 000000005E68: D3F30028 1A020148
	buffer_load_dword v10, v8, s[24:27], 0 offen               // 000000005E70: E0501000 80060A08
	v_mfma_f32_16x16x32_fp8_fp8 v[40:43], a[74:75], a[2:3], v[40:43]// 000000005E78: D3F30028 1CA2054A
	ds_read_b128 a[104:107], v4 offset:2048                    // 000000005E80: DBFE0800 68000004
	ds_read_b128 a[108:111], v4 offset:128                     // 000000005E88: DBFE0080 6C000004
	v_mfma_f32_16x16x32_fp8_fp8 v[40:43], a[76:77], a[4:5], v[40:43]// 000000005E90: D3F30028 1CA2094C
	v_mfma_f32_16x16x32_fp8_fp8 v[40:43], a[78:79], a[6:7], v[40:43]// 000000005E98: D3F30028 1CA20D4E
	v_mfma_f32_16x16x32_fp8_fp8 v[40:43], a[80:81], a[8:9], v[40:43]// 000000005EA0: D3F30028 1CA21150
	v_mfma_f32_16x16x32_fp8_fp8 v[40:43], a[82:83], a[10:11], v[40:43]// 000000005EA8: D3F30028 1CA21552
	ds_read_b128 a[112:115], v4 offset:384                     // 000000005EB0: DBFE0180 70000004
	ds_read_b128 a[116:119], v4 offset:640                     // 000000005EB8: DBFE0280 74000004
	v_mfma_f32_16x16x32_fp8_fp8 v[40:43], a[84:85], a[12:13], v[40:43]// 000000005EC0: D3F30028 1CA21954
	v_mfma_f32_16x16x32_fp8_fp8 v[40:43], a[86:87], a[14:15], v[40:43]// 000000005EC8: D3F30028 1CA21D56
	s_waitcnt lgkmcnt(4)                                       // 000000005ED0: BF8CC47F
	v_mfma_f32_16x16x32_fp8_fp8 v[40:43], a[88:89], a[16:17], v[40:43]// 000000005ED4: D3F30028 1CA22158
	v_mfma_f32_16x16x32_fp8_fp8 v[40:43], a[90:91], a[18:19], v[40:43]// 000000005EDC: D3F30028 1CA2255A
	ds_read_b128 a[120:123], v4 offset:896                     // 000000005EE4: DBFE0380 78000004
	ds_read_b128 a[124:127], v4 offset:1152                    // 000000005EEC: DBFE0480 7C000004
	v_mfma_f32_16x16x32_fp8_fp8 v[40:43], a[92:93], a[20:21], v[40:43]// 000000005EF4: D3F30028 1CA2295C
	v_mfma_f32_16x16x32_fp8_fp8 v[40:43], a[94:95], a[22:23], v[40:43]// 000000005EFC: D3F30028 1CA22D5E
	v_mfma_f32_16x16x32_fp8_fp8 v[40:43], a[96:97], a[24:25], v[40:43]// 000000005F04: D3F30028 1CA23160
	v_mfma_f32_16x16x32_fp8_fp8 v[40:43], a[98:99], a[26:27], v[40:43]// 000000005F0C: D3F30028 1CA23562
	ds_read_b128 a[128:131], v4 offset:1408                    // 000000005F14: DBFE0580 80000004
	ds_read_b128 a[132:135], v4 offset:1664                    // 000000005F1C: DBFE0680 84000004
	v_mfma_f32_16x16x32_fp8_fp8 v[40:43], a[100:101], a[28:29], v[40:43]// 000000005F24: D3F30028 1CA23964
	v_mfma_f32_16x16x32_fp8_fp8 v[40:43], a[102:103], a[30:31], v[40:43]// 000000005F2C: D3F30028 1CA23D66
	s_waitcnt lgkmcnt(4)                                       // 000000005F34: BF8CC47F
	s_barrier                                                  // 000000005F38: BF8A0000
	v_mfma_f32_16x16x32_fp8_fp8 v[40:43], a[104:105], a[32:33], v[40:43]// 000000005F3C: D3F30028 1CA24168
	v_mfma_f32_16x16x32_fp8_fp8 v[40:43], a[106:107], a[34:35], v[40:43]// 000000005F44: D3F30028 1CA2456A
	ds_read_b128 a[136:139], v4 offset:1920                    // 000000005F4C: DBFE0780 88000004
	ds_read_b128 a[140:143], v4 offset:2176                    // 000000005F54: DBFE0880 8C000004
	v_mfma_f32_16x16x32_fp8_fp8 v[44:47], a[108:109], a[0:1], 0// 000000005F5C: D3F3002C 1A02016C
	buffer_load_dword v18, s[20:23], 0 offen lds               // 000000005F64: E0511000 80050012
	s_add_u32 m0, 0, s35                                       // 000000005F6C: 807C2380
	v_mfma_f32_16x16x32_fp8_fp8 v[44:47], a[110:111], a[2:3], v[44:47]// 000000005F70: D3F3002C 1CB2056E
	v_perm_b32 v32, v22, v20, s52                              // 000000005F78: D1ED0020 00D22916
	v_perm_b32 v33, v22, v20, s53                              // 000000005F80: D1ED0021 00D62916
	v_perm_b32 v34, v23, v21, s52                              // 000000005F88: D1ED0022 00D22B17
	v_perm_b32 v35, v23, v21, s53                              // 000000005F90: D1ED0023 00D62B17
	v_perm_b32 v28, v34, v32, s54                              // 000000005F98: D1ED001C 00DA4122
	v_perm_b32 v36, v34, v32, s55                              // 000000005FA0: D1ED0024 00DE4122
	v_perm_b32 v30, v35, v33, s54                              // 000000005FA8: D1ED001E 00DA4323
	v_perm_b32 v38, v35, v33, s55                              // 000000005FB0: D1ED0026 00DE4323
	v_mfma_f32_16x16x32_fp8_fp8 v[44:47], a[112:113], a[4:5], v[44:47]// 000000005FB8: D3F3002C 1CB20970
	buffer_load_dword v19, s[20:23], 0 offen lds               // 000000005FC0: E0511000 80050013
	s_add_u32 m0, 0xc0, s34                                    // 000000005FC8: 807C22FF 000000C0
	v_mfma_f32_16x16x32_fp8_fp8 v[44:47], a[114:115], a[6:7], v[44:47]// 000000005FD0: D3F3002C 1CB20D72
	v_perm_b32 v32, v26, v24, s52                              // 000000005FD8: D1ED0020 00D2311A
	v_perm_b32 v33, v26, v24, s53                              // 000000005FE0: D1ED0021 00D6311A
	v_perm_b32 v34, v27, v25, s52                              // 000000005FE8: D1ED0022 00D2331B
	v_perm_b32 v35, v27, v25, s53                              // 000000005FF0: D1ED0023 00D6331B
	v_perm_b32 v29, v34, v32, s54                              // 000000005FF8: D1ED001D 00DA4122
	v_perm_b32 v37, v34, v32, s55                              // 000000006000: D1ED0025 00DE4122
	v_perm_b32 v31, v35, v33, s54                              // 000000006008: D1ED001F 00DA4323
	v_perm_b32 v39, v35, v33, s55                              // 000000006010: D1ED0027 00DE4323
	v_mfma_f32_16x16x32_fp8_fp8 v[44:47], a[116:117], a[8:9], v[44:47]// 000000006018: D3F3002C 1CB21174
	buffer_load_dword v18, s[20:23], 0 offen offset:64 lds     // 000000006020: E0511040 80050012
	s_add_u32 m0, 0xc0, s35                                    // 000000006028: 807C23FF 000000C0
	v_mfma_f32_16x16x32_fp8_fp8 v[44:47], a[118:119], a[10:11], v[44:47]// 000000006030: D3F3002C 1CB21576
	ds_write_b128 v6, v[28:31] offset:45312                    // 000000006038: D9BEB100 00001C06
	s_waitcnt lgkmcnt(1)                                       // 000000006040: BF8CC17F
	v_mfma_f32_16x16x32_fp8_fp8 v[44:47], a[120:121], a[12:13], v[44:47]// 000000006044: D3F3002C 1CB21978
	buffer_load_dword v19, s[20:23], 0 offen offset:64 lds     // 00000000604C: E0511040 80050013
	s_add_u32 m0, 0x180, s34                                   // 000000006054: 807C22FF 00000180
	v_mfma_f32_16x16x32_fp8_fp8 v[44:47], a[122:123], a[14:15], v[44:47]// 00000000605C: D3F3002C 1CB21D7A
	ds_write_b128 v6, v[36:39] offset:46336                    // 000000006064: D9BEB500 00002406
	v_mfma_f32_16x16x32_fp8_fp8 v[44:47], a[124:125], a[16:17], v[44:47]// 00000000606C: D3F3002C 1CB2217C
	buffer_load_dword v18, s[20:23], 0 offen offset:128 lds    // 000000006074: E0511080 80050012
	s_add_u32 m0, 0x180, s35                                   // 00000000607C: 807C23FF 00000180
	v_mfma_f32_16x16x32_fp8_fp8 v[44:47], a[126:127], a[18:19], v[44:47]// 000000006084: D3F3002C 1CB2257E
	v_mfma_f32_16x16x32_fp8_fp8 v[44:47], a[128:129], a[20:21], v[44:47]// 00000000608C: D3F3002C 1CB22980
	buffer_load_dword v19, s[20:23], 0 offen offset:128 lds    // 000000006094: E0511080 80050013
	s_add_u32 m0, 0x240, s34                                   // 00000000609C: 807C22FF 00000240
	v_mfma_f32_16x16x32_fp8_fp8 v[44:47], a[130:131], a[22:23], v[44:47]// 0000000060A4: D3F3002C 1CB22D82
	v_mfma_f32_16x16x32_fp8_fp8 v[44:47], a[132:133], a[24:25], v[44:47]// 0000000060AC: D3F3002C 1CB23184
	buffer_load_dword v18, s[20:23], 0 offen offset:192 lds    // 0000000060B4: E05110C0 80050012
	s_add_u32 m0, 0x240, s35                                   // 0000000060BC: 807C23FF 00000240
	v_mfma_f32_16x16x32_fp8_fp8 v[44:47], a[134:135], a[26:27], v[44:47]// 0000000060C4: D3F3002C 1CB23586
	v_mfma_f32_16x16x32_fp8_fp8 v[44:47], a[136:137], a[28:29], v[44:47]// 0000000060CC: D3F3002C 1CB23988
	buffer_load_dword v19, s[20:23], 0 offen offset:192 lds    // 0000000060D4: E05110C0 80050013
	s_add_u32 m0, 0x300, s34                                   // 0000000060DC: 807C22FF 00000300
	v_mfma_f32_16x16x32_fp8_fp8 v[44:47], a[138:139], a[30:31], v[44:47]// 0000000060E4: D3F3002C 1CB23D8A
	v_mfma_f32_16x16x32_fp8_fp8 v[44:47], a[140:141], a[32:33], v[44:47]// 0000000060EC: D3F3002C 1CB2418C
	buffer_load_dword v18, s[20:23], 0 offen offset:256 lds    // 0000000060F4: E0511100 80050012
	s_add_u32 m0, 0x300, s35                                   // 0000000060FC: 807C23FF 00000300
	v_mfma_f32_16x16x32_fp8_fp8 v[44:47], a[142:143], a[34:35], v[44:47]// 000000006104: D3F3002C 1CB2458E
	v_add_u32_e32 v8, s73, v8                                  // 00000000610C: 68101049
	s_waitcnt lgkmcnt(0)                                       // 000000006110: BF8CC07F
	s_barrier                                                  // 000000006114: BF8A0000
	v_mfma_f32_16x16x32_fp8_fp8 v[48:51], a[72:73], a[36:37], 0// 000000006118: D3F30030 1A024948
	v_mfma_f32_16x16x32_fp8_fp8 v[48:51], a[74:75], a[38:39], v[48:51]// 000000006120: D3F30030 1CC24D4A
	v_max3_f32 v24, v40, v41, v40                              // 000000006128: D1D30018 04A25328
	v_max3_f32 v24, v42, v43, v24                              // 000000006130: D1D30018 0462572A
	v_max3_f32 v24, v44, v45, v24                              // 000000006138: D1D30018 04625B2C
	v_max3_f32 v24, v46, v47, v24                              // 000000006140: D1D30018 04625F2E
	ds_write_b32 v3, v24 offset:53504                          // 000000006148: D81AD100 00001803
	v_mfma_f32_16x16x32_fp8_fp8 v[48:51], a[76:77], a[40:41], v[48:51]// 000000006150: D3F30030 1CC2514C
	buffer_load_dword v19, s[20:23], 0 offen offset:256 lds    // 000000006158: E0511100 80050013
	s_add_u32 m0, 0x3c0, s34                                   // 000000006160: 807C22FF 000003C0
	v_mfma_f32_16x16x32_fp8_fp8 v[48:51], a[78:79], a[42:43], v[48:51]// 000000006168: D3F30030 1CC2554E
	v_mfma_f32_16x16x32_fp8_fp8 v[48:51], a[80:81], a[44:45], v[48:51]// 000000006170: D3F30030 1CC25950
	buffer_load_dword v18, s[20:23], 0 offen offset:320 lds    // 000000006178: E0511140 80050012
	s_add_u32 m0, 0x3c0, s35                                   // 000000006180: 807C23FF 000003C0
	v_mfma_f32_16x16x32_fp8_fp8 v[48:51], a[82:83], a[46:47], v[48:51]// 000000006188: D3F30030 1CC25D52
	v_mfma_f32_16x16x32_fp8_fp8 v[48:51], a[84:85], a[48:49], v[48:51]// 000000006190: D3F30030 1CC26154
	s_waitcnt lgkmcnt(0)                                       // 000000006198: BF8CC07F
	ds_read_b32 v20, v2 offset:53504                           // 00000000619C: D86CD100 14000002
	ds_read_b32 v21, v2 offset:53568                           // 0000000061A4: D86CD140 15000002
	v_mfma_f32_16x16x32_fp8_fp8 v[48:51], a[86:87], a[50:51], v[48:51]// 0000000061AC: D3F30030 1CC26556
	ds_read_b32 v22, v2 offset:53632                           // 0000000061B4: D86CD180 16000002
	ds_read_b32 v23, v2 offset:53696                           // 0000000061BC: D86CD1C0 17000002
	v_mfma_f32_16x16x32_fp8_fp8 v[48:51], a[88:89], a[52:53], v[48:51]// 0000000061C4: D3F30030 1CC26958
	buffer_load_dword v19, s[20:23], 0 offen offset:320 lds    // 0000000061CC: E0511140 80050013
	s_add_u32 m0, 0x480, s34                                   // 0000000061D4: 807C22FF 00000480
	v_mfma_f32_16x16x32_fp8_fp8 v[48:51], a[90:91], a[54:55], v[48:51]// 0000000061DC: D3F30030 1CC26D5A
	v_mfma_f32_16x16x32_fp8_fp8 v[48:51], a[92:93], a[56:57], v[48:51]// 0000000061E4: D3F30030 1CC2715C
	buffer_load_dword v18, s[20:23], 0 offen offset:384 lds    // 0000000061EC: E0511180 80050012
	s_add_u32 m0, 0x480, s35                                   // 0000000061F4: 807C23FF 00000480
	v_mfma_f32_16x16x32_fp8_fp8 v[48:51], a[94:95], a[58:59], v[48:51]// 0000000061FC: D3F30030 1CC2755E
	v_mfma_f32_16x16x32_fp8_fp8 v[48:51], a[96:97], a[60:61], v[48:51]// 000000006204: D3F30030 1CC27960
	buffer_load_dword v19, s[20:23], 0 offen offset:384 lds    // 00000000620C: E0511180 80050013
	s_add_u32 m0, 0x540, s34                                   // 000000006214: 807C22FF 00000540
	v_mfma_f32_16x16x32_fp8_fp8 v[48:51], a[98:99], a[62:63], v[48:51]// 00000000621C: D3F30030 1CC27D62
	v_mfma_f32_16x16x32_fp8_fp8 v[48:51], a[100:101], a[64:65], v[48:51]// 000000006224: D3F30030 1CC28164
	s_waitcnt lgkmcnt(0)                                       // 00000000622C: BF8CC07F
	v_max3_f32 v24, v20, v21, v24                              // 000000006230: D1D30018 04622B14
	v_max3_f32 v24, v22, v23, v24                              // 000000006238: D1D30018 04622F16
	v_mfma_f32_16x16x32_fp8_fp8 v[48:51], a[102:103], a[66:67], v[48:51]// 000000006240: D3F30030 1CC28566
	v_mfma_f32_16x16x32_fp8_fp8 v[48:51], a[104:105], a[68:69], v[48:51]// 000000006248: D3F30030 1CC28968
	buffer_load_dword v18, s[20:23], 0 offen offset:448 lds    // 000000006250: E05111C0 80050012
	s_add_u32 m0, 0x540, s35                                   // 000000006258: 807C23FF 00000540
	v_mfma_f32_16x16x32_fp8_fp8 v[48:51], a[106:107], a[70:71], v[48:51]// 000000006260: D3F30030 1CC28D6A
	v_mfma_f32_16x16x32_fp8_fp8 v[52:55], a[108:109], a[36:37], 0// 000000006268: D3F30034 1A02496C
	buffer_load_dword v19, s[20:23], 0 offen offset:448 lds    // 000000006270: E05111C0 80050013
	s_add_u32 m0, 0x600, s34                                   // 000000006278: 807C22FF 00000600
	v_mfma_f32_16x16x32_fp8_fp8 v[52:55], a[110:111], a[38:39], v[52:55]// 000000006280: D3F30034 1CD24D6E
	v_mfma_f32_16x16x32_fp8_fp8 v[52:55], a[112:113], a[40:41], v[52:55]// 000000006288: D3F30034 1CD25170
	buffer_load_dword v18, s[20:23], 0 offen offset:512 lds    // 000000006290: E0511200 80050012
	s_add_u32 m0, 0x600, s35                                   // 000000006298: 807C23FF 00000600
	v_mfma_f32_16x16x32_fp8_fp8 v[52:55], a[114:115], a[42:43], v[52:55]// 0000000062A0: D3F30034 1CD25572
	ds_read_b128 a[72:75], v7 offset:37120                     // 0000000062A8: DBFE9100 48000007
	ds_read_b128 a[76:79], v7 offset:38144                     // 0000000062B0: DBFE9500 4C000007
	v_mfma_f32_16x16x32_fp8_fp8 v[52:55], a[116:117], a[44:45], v[52:55]// 0000000062B8: D3F30034 1CD25974
	v_mfma_f32_16x16x32_fp8_fp8 v[52:55], a[118:119], a[46:47], v[52:55]// 0000000062C0: D3F30034 1CD25D76
	v_mfma_f32_16x16x32_fp8_fp8 v[52:55], a[120:121], a[48:49], v[52:55]// 0000000062C8: D3F30034 1CD26178
	buffer_load_dword v19, s[20:23], 0 offen offset:512 lds    // 0000000062D0: E0511200 80050013
	s_add_u32 m0, 0x6c0, s34                                   // 0000000062D8: 807C22FF 000006C0
	v_mfma_f32_16x16x32_fp8_fp8 v[52:55], a[122:123], a[50:51], v[52:55]// 0000000062E0: D3F30034 1CD2657A
	ds_read_b128 a[80:83], v7 offset:39168                     // 0000000062E8: DBFE9900 50000007
	ds_read_b128 a[84:87], v7 offset:40192                     // 0000000062F0: DBFE9D00 54000007
	v_mfma_f32_16x16x32_fp8_fp8 v[52:55], a[124:125], a[52:53], v[52:55]// 0000000062F8: D3F30034 1CD2697C
	v_mfma_f32_16x16x32_fp8_fp8 v[52:55], a[126:127], a[54:55], v[52:55]// 000000006300: D3F30034 1CD26D7E
	v_mfma_f32_16x16x32_fp8_fp8 v[52:55], a[128:129], a[56:57], v[52:55]// 000000006308: D3F30034 1CD27180
	v_mfma_f32_16x16x32_fp8_fp8 v[52:55], a[130:131], a[58:59], v[52:55]// 000000006310: D3F30034 1CD27582
	ds_read_b128 a[88:91], v7 offset:41216                     // 000000006318: DBFEA100 58000007
	ds_read_b128 a[92:95], v7 offset:42240                     // 000000006320: DBFEA500 5C000007
	v_mfma_f32_16x16x32_fp8_fp8 v[52:55], a[132:133], a[60:61], v[52:55]// 000000006328: D3F30034 1CD27984
	v_mfma_f32_16x16x32_fp8_fp8 v[52:55], a[134:135], a[62:63], v[52:55]// 000000006330: D3F30034 1CD27D86
	v_mfma_f32_16x16x32_fp8_fp8 v[52:55], a[136:137], a[64:65], v[52:55]// 000000006338: D3F30034 1CD28188
	v_mfma_f32_16x16x32_fp8_fp8 v[52:55], a[138:139], a[66:67], v[52:55]// 000000006340: D3F30034 1CD2858A
	ds_read_b128 a[96:99], v7 offset:43264                     // 000000006348: DBFEA900 60000007
	ds_read_b128 a[100:103], v7 offset:44288                   // 000000006350: DBFEAD00 64000007
	v_mfma_f32_16x16x32_fp8_fp8 v[52:55], a[140:141], a[68:69], v[52:55]// 000000006358: D3F30034 1CD2898C
	v_mfma_f32_16x16x32_fp8_fp8 v[52:55], a[142:143], a[70:71], v[52:55]// 000000006360: D3F30034 1CD28D8E
	v_mov_b32_e32 v25, 0xff7fffff                              // 000000006368: 7E3202FF FF7FFFFF
	v_cmp_eq_u32_e64 s[38:39], v25, v12                        // 000000006370: D0CA0026 00021919
	v_max_f32_e32 v20, v24, v12                                // 000000006378: 16281918
	v_sub_f32_e32 v16, v12, v20                                // 00000000637C: 0420290C
	v_cndmask_b32_e64 v16, v16, 0, s[38:39]                    // 000000006380: D1000010 00990110
	v_mov_b32_e32 v12, v20                                     // 000000006388: 7E180314
	v_mul_f32_e32 v21, s5, v20                                 // 00000000638C: 0A2A2805
	v_mul_f32_e32 v16, s5, v16                                 // 000000006390: 0A202005
	v_exp_f32_e32 v16, v16                                     // 000000006394: 7E204110
	v_fma_f32 v40, v40, s5, -v21                               // 000000006398: D1CB0028 84540B28
	v_fma_f32 v41, v41, s5, -v21                               // 0000000063A0: D1CB0029 84540B29
	v_fma_f32 v42, v42, s5, -v21                               // 0000000063A8: D1CB002A 84540B2A
	v_fma_f32 v43, v43, s5, -v21                               // 0000000063B0: D1CB002B 84540B2B
	v_fma_f32 v44, v44, s5, -v21                               // 0000000063B8: D1CB002C 84540B2C
	v_fma_f32 v45, v45, s5, -v21                               // 0000000063C0: D1CB002D 84540B2D
	v_fma_f32 v46, v46, s5, -v21                               // 0000000063C8: D1CB002E 84540B2E
	v_fma_f32 v47, v47, s5, -v21                               // 0000000063D0: D1CB002F 84540B2F
	v_exp_f32_e32 v40, v40                                     // 0000000063D8: 7E504128
	v_exp_f32_e32 v41, v41                                     // 0000000063DC: 7E524129
	v_exp_f32_e32 v42, v42                                     // 0000000063E0: 7E54412A
	v_exp_f32_e32 v43, v43                                     // 0000000063E4: 7E56412B
	v_exp_f32_e32 v44, v44                                     // 0000000063E8: 7E58412C
	v_exp_f32_e32 v45, v45                                     // 0000000063EC: 7E5A412D
	v_exp_f32_e32 v46, v46                                     // 0000000063F0: 7E5C412E
	v_exp_f32_e32 v47, v47                                     // 0000000063F4: 7E5E412F
	v_mul_f32_e32 v14, v16, v14                                // 0000000063F8: 0A1C1D10
	v_mov_b32_e32 v22, v40                                     // 0000000063FC: 7E2C0328
	v_add_f32_e32 v22, v41, v22                                // 000000006400: 022C2D29
	v_add_f32_e32 v22, v42, v22                                // 000000006404: 022C2D2A
	v_add_f32_e32 v22, v43, v22                                // 000000006408: 022C2D2B
	v_add_f32_e32 v22, v44, v22                                // 00000000640C: 022C2D2C
	v_add_f32_e32 v22, v45, v22                                // 000000006410: 022C2D2D
	v_add_f32_e32 v22, v46, v22                                // 000000006414: 022C2D2E
	v_add_f32_e32 v22, v47, v22                                // 000000006418: 022C2D2F
	v_add_f32_e32 v14, v22, v14                                // 00000000641C: 021C1D16
	v_cvt_pk_fp8_f32 v40, v40, v41                             // 000000006420: D2A20028 00025328
	v_cvt_pk_fp8_f32 v40, v42, v43 op_sel:[0,0,1]              // 000000006428: D2A24028 0002572A
	v_cvt_pk_fp8_f32 v41, v44, v45                             // 000000006430: D2A20029 00025B2C
	v_cvt_pk_fp8_f32 v41, v46, v47 op_sel:[0,0,1]              // 000000006438: D2A24029 00025F2E
	s_nop 0                                                    // 000000006440: BF800000
	v_mul_u32_u24_dpp v18, v11, v9 row_newbcast:0 row_mask:0xf bank_mask:0xf// 000000006444: 102412FA FF01500B
	v_mul_u32_u24_dpp v19, v11, v9 row_newbcast:8 row_mask:0xf bank_mask:0xf// 00000000644C: 102612FA FF01580B
	v_add_u32_e32 v18, v18, v1                                 // 000000006454: 68240312
	v_add_u32_e32 v19, v19, v1                                 // 000000006458: 68260313
	s_mov_b32 m0, s36                                          // 00000000645C: BEFC0024
	v_mov_b32_e32 v22, v16                                     // 000000006460: 7E2C0310
	v_mov_b32_e32 v23, v16                                     // 000000006464: 7E2E0310
	v_pk_mul_f32 v[56:57], v[22:23], v[56:57]                  // 000000006468: D3B14038 18027116
	v_pk_mul_f32 v[58:59], v[22:23], v[58:59]                  // 000000006470: D3B1403A 18027516
	v_pk_mul_f32 v[60:61], v[22:23], v[60:61]                  // 000000006478: D3B1403C 18027916
	v_pk_mul_f32 v[62:63], v[22:23], v[62:63]                  // 000000006480: D3B1403E 18027D16
	v_pk_mul_f32 v[64:65], v[22:23], v[64:65]                  // 000000006488: D3B14040 18028116
	v_pk_mul_f32 v[66:67], v[22:23], v[66:67]                  // 000000006490: D3B14042 18028516
	v_pk_mul_f32 v[68:69], v[22:23], v[68:69]                  // 000000006498: D3B14044 18028916
	v_pk_mul_f32 v[70:71], v[22:23], v[70:71]                  // 0000000064A0: D3B14046 18028D16
	v_pk_mul_f32 v[72:73], v[22:23], v[72:73]                  // 0000000064A8: D3B14048 18029116
	v_pk_mul_f32 v[74:75], v[22:23], v[74:75]                  // 0000000064B0: D3B1404A 18029516
	v_pk_mul_f32 v[76:77], v[22:23], v[76:77]                  // 0000000064B8: D3B1404C 18029916
	v_pk_mul_f32 v[78:79], v[22:23], v[78:79]                  // 0000000064C0: D3B1404E 18029D16
	v_pk_mul_f32 v[80:81], v[22:23], v[80:81]                  // 0000000064C8: D3B14050 1802A116
	v_pk_mul_f32 v[82:83], v[22:23], v[82:83]                  // 0000000064D0: D3B14052 1802A516
	v_pk_mul_f32 v[84:85], v[22:23], v[84:85]                  // 0000000064D8: D3B14054 1802A916
	v_pk_mul_f32 v[86:87], v[22:23], v[86:87]                  // 0000000064E0: D3B14056 1802AD16
	v_pk_mul_f32 v[88:89], v[22:23], v[88:89]                  // 0000000064E8: D3B14058 1802B116
	v_pk_mul_f32 v[90:91], v[22:23], v[90:91]                  // 0000000064F0: D3B1405A 1802B516
	v_pk_mul_f32 v[92:93], v[22:23], v[92:93]                  // 0000000064F8: D3B1405C 1802B916
	v_pk_mul_f32 v[94:95], v[22:23], v[94:95]                  // 000000006500: D3B1405E 1802BD16
	v_pk_mul_f32 v[96:97], v[22:23], v[96:97]                  // 000000006508: D3B14060 1802C116
	v_pk_mul_f32 v[98:99], v[22:23], v[98:99]                  // 000000006510: D3B14062 1802C516
	v_pk_mul_f32 v[100:101], v[22:23], v[100:101]              // 000000006518: D3B14064 1802C916
	v_pk_mul_f32 v[102:103], v[22:23], v[102:103]              // 000000006520: D3B14066 1802CD16
	v_pk_mul_f32 v[104:105], v[22:23], v[104:105]              // 000000006528: D3B14068 1802D116
	v_pk_mul_f32 v[106:107], v[22:23], v[106:107]              // 000000006530: D3B1406A 1802D516
	v_pk_mul_f32 v[108:109], v[22:23], v[108:109]              // 000000006538: D3B1406C 1802D916
	v_pk_mul_f32 v[110:111], v[22:23], v[110:111]              // 000000006540: D3B1406E 1802DD16
	v_pk_mul_f32 v[112:113], v[22:23], v[112:113]              // 000000006548: D3B14070 1802E116
	v_pk_mul_f32 v[114:115], v[22:23], v[114:115]              // 000000006550: D3B14072 1802E516
	v_pk_mul_f32 v[116:117], v[22:23], v[116:117]              // 000000006558: D3B14074 1802E916
	v_pk_mul_f32 v[118:119], v[22:23], v[118:119]              // 000000006560: D3B14076 1802ED16
	v_pk_mul_f32 v[120:121], v[22:23], v[120:121]              // 000000006568: D3B14078 1802F116
	v_pk_mul_f32 v[122:123], v[22:23], v[122:123]              // 000000006570: D3B1407A 1802F516
	v_pk_mul_f32 v[124:125], v[22:23], v[124:125]              // 000000006578: D3B1407C 1802F916
	v_pk_mul_f32 v[126:127], v[22:23], v[126:127]              // 000000006580: D3B1407E 1802FD16
	v_pk_mul_f32 v[128:129], v[22:23], v[128:129]              // 000000006588: D3B14080 18030116
	v_pk_mul_f32 v[130:131], v[22:23], v[130:131]              // 000000006590: D3B14082 18030516
	v_pk_mul_f32 v[132:133], v[22:23], v[132:133]              // 000000006598: D3B14084 18030916
	v_pk_mul_f32 v[134:135], v[22:23], v[134:135]              // 0000000065A0: D3B14086 18030D16
	v_pk_mul_f32 v[136:137], v[22:23], v[136:137]              // 0000000065A8: D3B14088 18031116
	v_pk_mul_f32 v[138:139], v[22:23], v[138:139]              // 0000000065B0: D3B1408A 18031516
	v_pk_mul_f32 v[140:141], v[22:23], v[140:141]              // 0000000065B8: D3B1408C 18031916
	v_pk_mul_f32 v[142:143], v[22:23], v[142:143]              // 0000000065C0: D3B1408E 18031D16
	v_pk_mul_f32 v[144:145], v[22:23], v[144:145]              // 0000000065C8: D3B14090 18032116
	v_pk_mul_f32 v[146:147], v[22:23], v[146:147]              // 0000000065D0: D3B14092 18032516
	v_pk_mul_f32 v[148:149], v[22:23], v[148:149]              // 0000000065D8: D3B14094 18032916
	v_pk_mul_f32 v[150:151], v[22:23], v[150:151]              // 0000000065E0: D3B14096 18032D16
	v_pk_mul_f32 v[152:153], v[22:23], v[152:153]              // 0000000065E8: D3B14098 18033116
	v_pk_mul_f32 v[154:155], v[22:23], v[154:155]              // 0000000065F0: D3B1409A 18033516
	v_accvgpr_read_b32 v20, a144                               // 0000000065F8: D3D84014 18000190
	v_accvgpr_read_b32 v21, a145                               // 000000006600: D3D84015 18000191
	v_pk_mul_f32 v[20:21], v[22:23], v[20:21]                  // 000000006608: D3B14014 18022916
	v_accvgpr_write_b32 a144, v20                              // 000000006610: D3D94090 18000114
	v_accvgpr_write_b32 a145, v21                              // 000000006618: D3D94091 18000115
	v_accvgpr_read_b32 v20, a146                               // 000000006620: D3D84014 18000192
	v_accvgpr_read_b32 v21, a147                               // 000000006628: D3D84015 18000193
	v_pk_mul_f32 v[20:21], v[22:23], v[20:21]                  // 000000006630: D3B14014 18022916
	v_accvgpr_write_b32 a146, v20                              // 000000006638: D3D94092 18000114
	v_accvgpr_write_b32 a147, v21                              // 000000006640: D3D94093 18000115
	v_accvgpr_read_b32 v20, a148                               // 000000006648: D3D84014 18000194
	v_accvgpr_read_b32 v21, a149                               // 000000006650: D3D84015 18000195
	v_pk_mul_f32 v[20:21], v[22:23], v[20:21]                  // 000000006658: D3B14014 18022916
	v_accvgpr_write_b32 a148, v20                              // 000000006660: D3D94094 18000114
	v_accvgpr_write_b32 a149, v21                              // 000000006668: D3D94095 18000115
	v_accvgpr_read_b32 v20, a150                               // 000000006670: D3D84014 18000196
	v_accvgpr_read_b32 v21, a151                               // 000000006678: D3D84015 18000197
	v_pk_mul_f32 v[20:21], v[22:23], v[20:21]                  // 000000006680: D3B14014 18022916
	v_accvgpr_write_b32 a150, v20                              // 000000006688: D3D94096 18000114
	v_accvgpr_write_b32 a151, v21                              // 000000006690: D3D94097 18000115
	v_accvgpr_read_b32 v20, a152                               // 000000006698: D3D84014 18000198
	v_accvgpr_read_b32 v21, a153                               // 0000000066A0: D3D84015 18000199
	v_pk_mul_f32 v[20:21], v[22:23], v[20:21]                  // 0000000066A8: D3B14014 18022916
	v_accvgpr_write_b32 a152, v20                              // 0000000066B0: D3D94098 18000114
	v_accvgpr_write_b32 a153, v21                              // 0000000066B8: D3D94099 18000115
	v_accvgpr_read_b32 v20, a154                               // 0000000066C0: D3D84014 1800019A
	v_accvgpr_read_b32 v21, a155                               // 0000000066C8: D3D84015 1800019B
	v_pk_mul_f32 v[20:21], v[22:23], v[20:21]                  // 0000000066D0: D3B14014 18022916
	v_accvgpr_write_b32 a154, v20                              // 0000000066D8: D3D9409A 18000114
	v_accvgpr_write_b32 a155, v21                              // 0000000066E0: D3D9409B 18000115
	v_accvgpr_read_b32 v20, a156                               // 0000000066E8: D3D84014 1800019C
	v_accvgpr_read_b32 v21, a157                               // 0000000066F0: D3D84015 1800019D
	v_pk_mul_f32 v[20:21], v[22:23], v[20:21]                  // 0000000066F8: D3B14014 18022916
	v_accvgpr_write_b32 a156, v20                              // 000000006700: D3D9409C 18000114
	v_accvgpr_write_b32 a157, v21                              // 000000006708: D3D9409D 18000115
	v_accvgpr_read_b32 v20, a158                               // 000000006710: D3D84014 1800019E
	v_accvgpr_read_b32 v21, a159                               // 000000006718: D3D84015 1800019F
	v_pk_mul_f32 v[20:21], v[22:23], v[20:21]                  // 000000006720: D3B14014 18022916
	v_accvgpr_write_b32 a158, v20                              // 000000006728: D3D9409E 18000114
	v_accvgpr_write_b32 a159, v21                              // 000000006730: D3D9409F 18000115
	v_accvgpr_read_b32 v20, a160                               // 000000006738: D3D84014 180001A0
	v_accvgpr_read_b32 v21, a161                               // 000000006740: D3D84015 180001A1
	v_pk_mul_f32 v[20:21], v[22:23], v[20:21]                  // 000000006748: D3B14014 18022916
	v_accvgpr_write_b32 a160, v20                              // 000000006750: D3D940A0 18000114
	v_accvgpr_write_b32 a161, v21                              // 000000006758: D3D940A1 18000115
	v_accvgpr_read_b32 v20, a162                               // 000000006760: D3D84014 180001A2
	v_accvgpr_read_b32 v21, a163                               // 000000006768: D3D84015 180001A3
	v_pk_mul_f32 v[20:21], v[22:23], v[20:21]                  // 000000006770: D3B14014 18022916
	v_accvgpr_write_b32 a162, v20                              // 000000006778: D3D940A2 18000114
	v_accvgpr_write_b32 a163, v21                              // 000000006780: D3D940A3 18000115
	v_accvgpr_read_b32 v20, a164                               // 000000006788: D3D84014 180001A4
	v_accvgpr_read_b32 v21, a165                               // 000000006790: D3D84015 180001A5
	v_pk_mul_f32 v[20:21], v[22:23], v[20:21]                  // 000000006798: D3B14014 18022916
	v_accvgpr_write_b32 a164, v20                              // 0000000067A0: D3D940A4 18000114
	v_accvgpr_write_b32 a165, v21                              // 0000000067A8: D3D940A5 18000115
	v_accvgpr_read_b32 v20, a166                               // 0000000067B0: D3D84014 180001A6
	v_accvgpr_read_b32 v21, a167                               // 0000000067B8: D3D84015 180001A7
	v_pk_mul_f32 v[20:21], v[22:23], v[20:21]                  // 0000000067C0: D3B14014 18022916
	v_accvgpr_write_b32 a166, v20                              // 0000000067C8: D3D940A6 18000114
	v_accvgpr_write_b32 a167, v21                              // 0000000067D0: D3D940A7 18000115
	v_accvgpr_read_b32 v20, a168                               // 0000000067D8: D3D84014 180001A8
	v_accvgpr_read_b32 v21, a169                               // 0000000067E0: D3D84015 180001A9
	v_pk_mul_f32 v[20:21], v[22:23], v[20:21]                  // 0000000067E8: D3B14014 18022916
	v_accvgpr_write_b32 a168, v20                              // 0000000067F0: D3D940A8 18000114
	v_accvgpr_write_b32 a169, v21                              // 0000000067F8: D3D940A9 18000115
	v_accvgpr_read_b32 v20, a170                               // 000000006800: D3D84014 180001AA
	v_accvgpr_read_b32 v21, a171                               // 000000006808: D3D84015 180001AB
	v_pk_mul_f32 v[20:21], v[22:23], v[20:21]                  // 000000006810: D3B14014 18022916
	v_accvgpr_write_b32 a170, v20                              // 000000006818: D3D940AA 18000114
	v_accvgpr_write_b32 a171, v21                              // 000000006820: D3D940AB 18000115
	s_waitcnt lgkmcnt(0)                                       // 000000006828: BF8CC07F
	v_mfma_f32_16x16x32_fp8_fp8 v[56:59], a[72:73], v[40:41], v[56:59]// 00000000682C: D3F30038 0CE25148
	v_mfma_f32_16x16x32_fp8_fp8 v[60:63], a[74:75], v[40:41], v[60:63]// 000000006834: D3F3003C 0CF2514A
	ds_read_b128 a[104:107], v7 offset:45312                   // 00000000683C: DBFEB100 68000007
	ds_read_b128 a[108:111], v7 offset:46336                   // 000000006844: DBFEB500 6C000007
	v_mfma_f32_16x16x32_fp8_fp8 v[64:67], a[76:77], v[40:41], v[64:67]// 00000000684C: D3F30040 0D02514C
	v_mfma_f32_16x16x32_fp8_fp8 v[68:71], a[78:79], v[40:41], v[68:71]// 000000006854: D3F30044 0D12514E
	v_mfma_f32_16x16x32_fp8_fp8 v[72:75], a[80:81], v[40:41], v[72:75]// 00000000685C: D3F30048 0D225150
	v_mfma_f32_16x16x32_fp8_fp8 v[76:79], a[82:83], v[40:41], v[76:79]// 000000006864: D3F3004C 0D325152
	ds_read_b128 a[112:115], v7 offset:47360                   // 00000000686C: DBFEB900 70000007
	ds_read_b128 a[116:119], v7 offset:48384                   // 000000006874: DBFEBD00 74000007
	v_mfma_f32_16x16x32_fp8_fp8 v[80:83], a[84:85], v[40:41], v[80:83]// 00000000687C: D3F30050 0D425154
	v_mfma_f32_16x16x32_fp8_fp8 v[84:87], a[86:87], v[40:41], v[84:87]// 000000006884: D3F30054 0D525156
	v_mfma_f32_16x16x32_fp8_fp8 v[88:91], a[88:89], v[40:41], v[88:91]// 00000000688C: D3F30058 0D625158
	v_mfma_f32_16x16x32_fp8_fp8 v[92:95], a[90:91], v[40:41], v[92:95]// 000000006894: D3F3005C 0D72515A
	ds_read_b128 a[120:123], v7 offset:49408                   // 00000000689C: DBFEC100 78000007
	ds_read_b128 a[124:127], v7 offset:50432                   // 0000000068A4: DBFEC500 7C000007
	v_mfma_f32_16x16x32_fp8_fp8 v[96:99], a[92:93], v[40:41], v[96:99]// 0000000068AC: D3F30060 0D82515C
	v_mfma_f32_16x16x32_fp8_fp8 v[100:103], a[94:95], v[40:41], v[100:103]// 0000000068B4: D3F30064 0D92515E
	v_mfma_f32_16x16x32_fp8_fp8 v[104:107], a[96:97], v[40:41], v[104:107]// 0000000068BC: D3F30068 0DA25160
	v_mfma_f32_16x16x32_fp8_fp8 v[108:111], a[98:99], v[40:41], v[108:111]// 0000000068C4: D3F3006C 0DB25162
	ds_read_b128 a[128:131], v7 offset:51456                   // 0000000068CC: DBFEC900 80000007
	ds_read_b128 a[132:135], v7 offset:52480                   // 0000000068D4: DBFECD00 84000007
	v_mfma_f32_16x16x32_fp8_fp8 v[112:115], a[100:101], v[40:41], v[112:115]// 0000000068DC: D3F30070 0DC25164
	v_mfma_f32_16x16x32_fp8_fp8 v[116:119], a[102:103], v[40:41], v[116:119]// 0000000068E4: D3F30074 0DD25166
	s_waitcnt lgkmcnt(4)                                       // 0000000068EC: BF8CC47F
	v_mfma_f32_16x16x32_fp8_fp8 v[120:123], a[104:105], v[40:41], v[120:123]// 0000000068F0: D3F30078 0DE25168
	v_max3_f32 v24, v48, v49, v48                              // 0000000068F8: D1D30018 04C26330
	v_max3_f32 v24, v50, v51, v24                              // 000000006900: D1D30018 04626732
	v_max3_f32 v24, v52, v53, v24                              // 000000006908: D1D30018 04626B34
	v_max3_f32 v24, v54, v55, v24                              // 000000006910: D1D30018 04626F36
	ds_write_b32 v3, v24 offset:54528                          // 000000006918: D81AD500 00001803
	v_mfma_f32_16x16x32_fp8_fp8 v[124:127], a[106:107], v[40:41], v[124:127]// 000000006920: D3F3007C 0DF2516A
	v_mfma_f32_16x16x32_fp8_fp8 v[128:131], a[108:109], v[40:41], v[128:131]// 000000006928: D3F30080 0E02516C
	v_mfma_f32_16x16x32_fp8_fp8 v[132:135], a[110:111], v[40:41], v[132:135]// 000000006930: D3F30084 0E12516E
	v_mfma_f32_16x16x32_fp8_fp8 v[136:139], a[112:113], v[40:41], v[136:139]// 000000006938: D3F30088 0E225170
	v_mfma_f32_16x16x32_fp8_fp8 v[140:143], a[114:115], v[40:41], v[140:143]// 000000006940: D3F3008C 0E325172
	v_mfma_f32_16x16x32_fp8_fp8 v[144:147], a[116:117], v[40:41], v[144:147]// 000000006948: D3F30090 0E425174
	v_mfma_f32_16x16x32_fp8_fp8 v[148:151], a[118:119], v[40:41], v[148:151]// 000000006950: D3F30094 0E525176
	s_waitcnt lgkmcnt(0)                                       // 000000006958: BF8CC07F
	v_mfma_f32_16x16x32_fp8_fp8 v[152:155], a[120:121], v[40:41], v[152:155]// 00000000695C: D3F30098 0E625178
	s_waitcnt lgkmcnt(0)                                       // 000000006964: BF8CC07F
	ds_read_b32 v20, v2 offset:54528                           // 000000006968: D86CD500 14000002
	ds_read_b32 v21, v2 offset:54592                           // 000000006970: D86CD540 15000002
	v_mfma_f32_16x16x32_fp8_fp8 a[144:147], a[122:123], v[40:41], a[144:147]// 000000006978: D3F38090 0E42517A
	ds_read_b32 v22, v2 offset:54656                           // 000000006980: D86CD580 16000002
	ds_read_b32 v23, v2 offset:54720                           // 000000006988: D86CD5C0 17000002
	v_mfma_f32_16x16x32_fp8_fp8 a[148:151], a[124:125], v[40:41], a[148:151]// 000000006990: D3F38094 0E52517C
	v_mfma_f32_16x16x32_fp8_fp8 a[152:155], a[126:127], v[40:41], a[152:155]// 000000006998: D3F38098 0E62517E
	v_mfma_f32_16x16x32_fp8_fp8 a[156:159], a[128:129], v[40:41], a[156:159]// 0000000069A0: D3F3809C 0E725180
	v_mfma_f32_16x16x32_fp8_fp8 a[160:163], a[130:131], v[40:41], a[160:163]// 0000000069A8: D3F380A0 0E825182
	v_mfma_f32_16x16x32_fp8_fp8 a[164:167], a[132:133], v[40:41], a[164:167]// 0000000069B0: D3F380A4 0E925184
	v_mfma_f32_16x16x32_fp8_fp8 a[168:171], a[134:135], v[40:41], a[168:171]// 0000000069B8: D3F380A8 0EA25186
	s_waitcnt lgkmcnt(0)                                       // 0000000069C0: BF8CC07F
	v_max3_f32 v24, v20, v21, v24                              // 0000000069C4: D1D30018 04622B14
	v_max3_f32 v24, v22, v23, v24                              // 0000000069CC: D1D30018 04622F16
	v_mov_b32_e32 v25, 0xff7fffff                              // 0000000069D4: 7E3202FF FF7FFFFF
	v_cmp_eq_u32_e64 s[38:39], v25, v13                        // 0000000069DC: D0CA0026 00021B19
	v_max_f32_e32 v20, v24, v13                                // 0000000069E4: 16281B18
	v_sub_f32_e32 v17, v13, v20                                // 0000000069E8: 0422290D
	v_cndmask_b32_e64 v17, v17, 0, s[38:39]                    // 0000000069EC: D1000011 00990111
	v_mov_b32_e32 v13, v20                                     // 0000000069F4: 7E1A0314
	v_mul_f32_e32 v21, s5, v20                                 // 0000000069F8: 0A2A2805
	v_mul_f32_e32 v17, s5, v17                                 // 0000000069FC: 0A222205
	v_exp_f32_e32 v17, v17                                     // 000000006A00: 7E224111
	v_fma_f32 v48, v48, s5, -v21                               // 000000006A04: D1CB0030 84540B30
	v_fma_f32 v49, v49, s5, -v21                               // 000000006A0C: D1CB0031 84540B31
	v_fma_f32 v50, v50, s5, -v21                               // 000000006A14: D1CB0032 84540B32
	v_fma_f32 v51, v51, s5, -v21                               // 000000006A1C: D1CB0033 84540B33
	v_fma_f32 v52, v52, s5, -v21                               // 000000006A24: D1CB0034 84540B34
	v_fma_f32 v53, v53, s5, -v21                               // 000000006A2C: D1CB0035 84540B35
	v_fma_f32 v54, v54, s5, -v21                               // 000000006A34: D1CB0036 84540B36
	v_fma_f32 v55, v55, s5, -v21                               // 000000006A3C: D1CB0037 84540B37
	v_exp_f32_e32 v48, v48                                     // 000000006A44: 7E604130
	v_exp_f32_e32 v49, v49                                     // 000000006A48: 7E624131
	v_exp_f32_e32 v50, v50                                     // 000000006A4C: 7E644132
	v_exp_f32_e32 v51, v51                                     // 000000006A50: 7E664133
	v_exp_f32_e32 v52, v52                                     // 000000006A54: 7E684134
	v_exp_f32_e32 v53, v53                                     // 000000006A58: 7E6A4135
	v_exp_f32_e32 v54, v54                                     // 000000006A5C: 7E6C4136
	v_exp_f32_e32 v55, v55                                     // 000000006A60: 7E6E4137
	v_mul_f32_e32 v15, v17, v15                                // 000000006A64: 0A1E1F11
	v_mov_b32_e32 v22, v48                                     // 000000006A68: 7E2C0330
	v_add_f32_e32 v22, v49, v22                                // 000000006A6C: 022C2D31
	v_add_f32_e32 v22, v50, v22                                // 000000006A70: 022C2D32
	v_add_f32_e32 v22, v51, v22                                // 000000006A74: 022C2D33
	v_add_f32_e32 v22, v52, v22                                // 000000006A78: 022C2D34
	v_add_f32_e32 v22, v53, v22                                // 000000006A7C: 022C2D35
	v_add_f32_e32 v22, v54, v22                                // 000000006A80: 022C2D36
	v_add_f32_e32 v22, v55, v22                                // 000000006A84: 022C2D37
	v_add_f32_e32 v15, v22, v15                                // 000000006A88: 021E1F16
	v_cvt_pk_fp8_f32 v42, v48, v49                             // 000000006A8C: D2A2002A 00026330
	v_cvt_pk_fp8_f32 v42, v50, v51 op_sel:[0,0,1]              // 000000006A94: D2A2402A 00026732
	v_cvt_pk_fp8_f32 v43, v52, v53                             // 000000006A9C: D2A2002B 00026B34
	v_cvt_pk_fp8_f32 v43, v54, v55 op_sel:[0,0,1]              // 000000006AA4: D2A2402B 00026F36
	s_nop 0                                                    // 000000006AAC: BF800000
	v_mov_b32_e32 v22, v17                                     // 000000006AB0: 7E2C0311
	v_mov_b32_e32 v23, v17                                     // 000000006AB4: 7E2E0311
	v_pk_mul_f32 v[156:157], v[22:23], v[156:157]              // 000000006AB8: D3B1409C 18033916
	v_pk_mul_f32 v[158:159], v[22:23], v[158:159]              // 000000006AC0: D3B1409E 18033D16
	v_pk_mul_f32 v[160:161], v[22:23], v[160:161]              // 000000006AC8: D3B140A0 18034116
	v_pk_mul_f32 v[162:163], v[22:23], v[162:163]              // 000000006AD0: D3B140A2 18034516
	v_pk_mul_f32 v[164:165], v[22:23], v[164:165]              // 000000006AD8: D3B140A4 18034916
	v_pk_mul_f32 v[166:167], v[22:23], v[166:167]              // 000000006AE0: D3B140A6 18034D16
	v_pk_mul_f32 v[168:169], v[22:23], v[168:169]              // 000000006AE8: D3B140A8 18035116
	v_pk_mul_f32 v[170:171], v[22:23], v[170:171]              // 000000006AF0: D3B140AA 18035516
	v_pk_mul_f32 v[172:173], v[22:23], v[172:173]              // 000000006AF8: D3B140AC 18035916
	v_pk_mul_f32 v[174:175], v[22:23], v[174:175]              // 000000006B00: D3B140AE 18035D16
	v_pk_mul_f32 v[176:177], v[22:23], v[176:177]              // 000000006B08: D3B140B0 18036116
	v_pk_mul_f32 v[178:179], v[22:23], v[178:179]              // 000000006B10: D3B140B2 18036516
	v_pk_mul_f32 v[180:181], v[22:23], v[180:181]              // 000000006B18: D3B140B4 18036916
	v_pk_mul_f32 v[182:183], v[22:23], v[182:183]              // 000000006B20: D3B140B6 18036D16
	v_pk_mul_f32 v[184:185], v[22:23], v[184:185]              // 000000006B28: D3B140B8 18037116
	v_pk_mul_f32 v[186:187], v[22:23], v[186:187]              // 000000006B30: D3B140BA 18037516
	v_pk_mul_f32 v[188:189], v[22:23], v[188:189]              // 000000006B38: D3B140BC 18037916
	v_pk_mul_f32 v[190:191], v[22:23], v[190:191]              // 000000006B40: D3B140BE 18037D16
	v_pk_mul_f32 v[192:193], v[22:23], v[192:193]              // 000000006B48: D3B140C0 18038116
	v_pk_mul_f32 v[194:195], v[22:23], v[194:195]              // 000000006B50: D3B140C2 18038516
	v_pk_mul_f32 v[196:197], v[22:23], v[196:197]              // 000000006B58: D3B140C4 18038916
	v_pk_mul_f32 v[198:199], v[22:23], v[198:199]              // 000000006B60: D3B140C6 18038D16
	v_pk_mul_f32 v[200:201], v[22:23], v[200:201]              // 000000006B68: D3B140C8 18039116
	v_pk_mul_f32 v[202:203], v[22:23], v[202:203]              // 000000006B70: D3B140CA 18039516
	v_pk_mul_f32 v[204:205], v[22:23], v[204:205]              // 000000006B78: D3B140CC 18039916
	v_pk_mul_f32 v[206:207], v[22:23], v[206:207]              // 000000006B80: D3B140CE 18039D16
	v_pk_mul_f32 v[208:209], v[22:23], v[208:209]              // 000000006B88: D3B140D0 1803A116
	v_pk_mul_f32 v[210:211], v[22:23], v[210:211]              // 000000006B90: D3B140D2 1803A516
	v_pk_mul_f32 v[212:213], v[22:23], v[212:213]              // 000000006B98: D3B140D4 1803A916
	v_pk_mul_f32 v[214:215], v[22:23], v[214:215]              // 000000006BA0: D3B140D6 1803AD16
	v_pk_mul_f32 v[216:217], v[22:23], v[216:217]              // 000000006BA8: D3B140D8 1803B116
	v_pk_mul_f32 v[218:219], v[22:23], v[218:219]              // 000000006BB0: D3B140DA 1803B516
	v_pk_mul_f32 v[220:221], v[22:23], v[220:221]              // 000000006BB8: D3B140DC 1803B916
	v_pk_mul_f32 v[222:223], v[22:23], v[222:223]              // 000000006BC0: D3B140DE 1803BD16
	v_pk_mul_f32 v[224:225], v[22:23], v[224:225]              // 000000006BC8: D3B140E0 1803C116
	v_pk_mul_f32 v[226:227], v[22:23], v[226:227]              // 000000006BD0: D3B140E2 1803C516
	v_pk_mul_f32 v[228:229], v[22:23], v[228:229]              // 000000006BD8: D3B140E4 1803C916
	v_pk_mul_f32 v[230:231], v[22:23], v[230:231]              // 000000006BE0: D3B140E6 1803CD16
	v_pk_mul_f32 v[232:233], v[22:23], v[232:233]              // 000000006BE8: D3B140E8 1803D116
	v_pk_mul_f32 v[234:235], v[22:23], v[234:235]              // 000000006BF0: D3B140EA 1803D516
	v_pk_mul_f32 v[236:237], v[22:23], v[236:237]              // 000000006BF8: D3B140EC 1803D916
	v_pk_mul_f32 v[238:239], v[22:23], v[238:239]              // 000000006C00: D3B140EE 1803DD16
	v_pk_mul_f32 v[240:241], v[22:23], v[240:241]              // 000000006C08: D3B140F0 1803E116
	v_pk_mul_f32 v[242:243], v[22:23], v[242:243]              // 000000006C10: D3B140F2 1803E516
	v_pk_mul_f32 v[244:245], v[22:23], v[244:245]              // 000000006C18: D3B140F4 1803E916
	v_pk_mul_f32 v[246:247], v[22:23], v[246:247]              // 000000006C20: D3B140F6 1803ED16
	v_pk_mul_f32 v[248:249], v[22:23], v[248:249]              // 000000006C28: D3B140F8 1803F116
	v_pk_mul_f32 v[250:251], v[22:23], v[250:251]              // 000000006C30: D3B140FA 1803F516
	v_pk_mul_f32 v[252:253], v[22:23], v[252:253]              // 000000006C38: D3B140FC 1803F916
	v_pk_mul_f32 v[254:255], v[22:23], v[254:255]              // 000000006C40: D3B140FE 1803FD16
	v_accvgpr_read_b32 v20, a172                               // 000000006C48: D3D84014 180001AC
	v_accvgpr_read_b32 v21, a173                               // 000000006C50: D3D84015 180001AD
	v_pk_mul_f32 v[20:21], v[22:23], v[20:21]                  // 000000006C58: D3B14014 18022916
	v_accvgpr_write_b32 a172, v20                              // 000000006C60: D3D940AC 18000114
	v_accvgpr_write_b32 a173, v21                              // 000000006C68: D3D940AD 18000115
	v_accvgpr_read_b32 v20, a174                               // 000000006C70: D3D84014 180001AE
	v_accvgpr_read_b32 v21, a175                               // 000000006C78: D3D84015 180001AF
	v_pk_mul_f32 v[20:21], v[22:23], v[20:21]                  // 000000006C80: D3B14014 18022916
	v_accvgpr_write_b32 a174, v20                              // 000000006C88: D3D940AE 18000114
	v_accvgpr_write_b32 a175, v21                              // 000000006C90: D3D940AF 18000115
	v_accvgpr_read_b32 v20, a176                               // 000000006C98: D3D84014 180001B0
	v_accvgpr_read_b32 v21, a177                               // 000000006CA0: D3D84015 180001B1
	v_pk_mul_f32 v[20:21], v[22:23], v[20:21]                  // 000000006CA8: D3B14014 18022916
	v_accvgpr_write_b32 a176, v20                              // 000000006CB0: D3D940B0 18000114
	v_accvgpr_write_b32 a177, v21                              // 000000006CB8: D3D940B1 18000115
	v_accvgpr_read_b32 v20, a178                               // 000000006CC0: D3D84014 180001B2
	v_accvgpr_read_b32 v21, a179                               // 000000006CC8: D3D84015 180001B3
	v_pk_mul_f32 v[20:21], v[22:23], v[20:21]                  // 000000006CD0: D3B14014 18022916
	v_accvgpr_write_b32 a178, v20                              // 000000006CD8: D3D940B2 18000114
	v_accvgpr_write_b32 a179, v21                              // 000000006CE0: D3D940B3 18000115
	v_accvgpr_read_b32 v20, a180                               // 000000006CE8: D3D84014 180001B4
	v_accvgpr_read_b32 v21, a181                               // 000000006CF0: D3D84015 180001B5
	v_pk_mul_f32 v[20:21], v[22:23], v[20:21]                  // 000000006CF8: D3B14014 18022916
	v_accvgpr_write_b32 a180, v20                              // 000000006D00: D3D940B4 18000114
	v_accvgpr_write_b32 a181, v21                              // 000000006D08: D3D940B5 18000115
	v_accvgpr_read_b32 v20, a182                               // 000000006D10: D3D84014 180001B6
	v_accvgpr_read_b32 v21, a183                               // 000000006D18: D3D84015 180001B7
	v_pk_mul_f32 v[20:21], v[22:23], v[20:21]                  // 000000006D20: D3B14014 18022916
	v_accvgpr_write_b32 a182, v20                              // 000000006D28: D3D940B6 18000114
	v_accvgpr_write_b32 a183, v21                              // 000000006D30: D3D940B7 18000115
	v_accvgpr_read_b32 v20, a184                               // 000000006D38: D3D84014 180001B8
	v_accvgpr_read_b32 v21, a185                               // 000000006D40: D3D84015 180001B9
	v_pk_mul_f32 v[20:21], v[22:23], v[20:21]                  // 000000006D48: D3B14014 18022916
	v_accvgpr_write_b32 a184, v20                              // 000000006D50: D3D940B8 18000114
	v_accvgpr_write_b32 a185, v21                              // 000000006D58: D3D940B9 18000115
	v_accvgpr_read_b32 v20, a186                               // 000000006D60: D3D84014 180001BA
	v_accvgpr_read_b32 v21, a187                               // 000000006D68: D3D84015 180001BB
	v_pk_mul_f32 v[20:21], v[22:23], v[20:21]                  // 000000006D70: D3B14014 18022916
	v_accvgpr_write_b32 a186, v20                              // 000000006D78: D3D940BA 18000114
	v_accvgpr_write_b32 a187, v21                              // 000000006D80: D3D940BB 18000115
	v_accvgpr_read_b32 v20, a188                               // 000000006D88: D3D84014 180001BC
	v_accvgpr_read_b32 v21, a189                               // 000000006D90: D3D84015 180001BD
	v_pk_mul_f32 v[20:21], v[22:23], v[20:21]                  // 000000006D98: D3B14014 18022916
	v_accvgpr_write_b32 a188, v20                              // 000000006DA0: D3D940BC 18000114
	v_accvgpr_write_b32 a189, v21                              // 000000006DA8: D3D940BD 18000115
	v_accvgpr_read_b32 v20, a190                               // 000000006DB0: D3D84014 180001BE
	v_accvgpr_read_b32 v21, a191                               // 000000006DB8: D3D84015 180001BF
	v_pk_mul_f32 v[20:21], v[22:23], v[20:21]                  // 000000006DC0: D3B14014 18022916
	v_accvgpr_write_b32 a190, v20                              // 000000006DC8: D3D940BE 18000114
	v_accvgpr_write_b32 a191, v21                              // 000000006DD0: D3D940BF 18000115
	v_accvgpr_read_b32 v20, a192                               // 000000006DD8: D3D84014 180001C0
	v_accvgpr_read_b32 v21, a193                               // 000000006DE0: D3D84015 180001C1
	v_pk_mul_f32 v[20:21], v[22:23], v[20:21]                  // 000000006DE8: D3B14014 18022916
	v_accvgpr_write_b32 a192, v20                              // 000000006DF0: D3D940C0 18000114
	v_accvgpr_write_b32 a193, v21                              // 000000006DF8: D3D940C1 18000115
	v_accvgpr_read_b32 v20, a194                               // 000000006E00: D3D84014 180001C2
	v_accvgpr_read_b32 v21, a195                               // 000000006E08: D3D84015 180001C3
	v_pk_mul_f32 v[20:21], v[22:23], v[20:21]                  // 000000006E10: D3B14014 18022916
	v_accvgpr_write_b32 a194, v20                              // 000000006E18: D3D940C2 18000114
	v_accvgpr_write_b32 a195, v21                              // 000000006E20: D3D940C3 18000115
	v_accvgpr_read_b32 v20, a196                               // 000000006E28: D3D84014 180001C4
	v_accvgpr_read_b32 v21, a197                               // 000000006E30: D3D84015 180001C5
	v_pk_mul_f32 v[20:21], v[22:23], v[20:21]                  // 000000006E38: D3B14014 18022916
	v_accvgpr_write_b32 a196, v20                              // 000000006E40: D3D940C4 18000114
	v_accvgpr_write_b32 a197, v21                              // 000000006E48: D3D940C5 18000115
	v_accvgpr_read_b32 v20, a198                               // 000000006E50: D3D84014 180001C6
	v_accvgpr_read_b32 v21, a199                               // 000000006E58: D3D84015 180001C7
	v_pk_mul_f32 v[20:21], v[22:23], v[20:21]                  // 000000006E60: D3B14014 18022916
	v_accvgpr_write_b32 a198, v20                              // 000000006E68: D3D940C6 18000114
	v_accvgpr_write_b32 a199, v21                              // 000000006E70: D3D940C7 18000115
	s_waitcnt vmcnt(18) lgkmcnt(0)                             // 000000006E78: BF8C4072
	s_barrier                                                  // 000000006E7C: BF8A0000
	v_mfma_f32_16x16x32_fp8_fp8 v[156:159], a[72:73], v[42:43], v[156:159]// 000000006E80: D3F3009C 0E725548
	ds_read_b32 v20, v5 offset:18560                           // 000000006E88: D86C4880 14000005
	ds_read_b32 v21, v5 offset:23200                           // 000000006E90: D86C5AA0 15000005
	ds_read_b32 v22, v5 offset:27840                           // 000000006E98: D86C6CC0 16000005
	ds_read_b32 v23, v5 offset:32480                           // 000000006EA0: D86C7EE0 17000005
	v_mfma_f32_16x16x32_fp8_fp8 v[160:163], a[74:75], v[42:43], v[160:163]// 000000006EA8: D3F300A0 0E82554A
	v_mfma_f32_16x16x32_fp8_fp8 v[164:167], a[76:77], v[42:43], v[164:167]// 000000006EB0: D3F300A4 0E92554C
	ds_read_b32 v24, v5 offset:18688                           // 000000006EB8: D86C4900 18000005
	ds_read_b32 v25, v5 offset:23328                           // 000000006EC0: D86C5B20 19000005
	ds_read_b32 v26, v5 offset:27968                           // 000000006EC8: D86C6D40 1A000005
	ds_read_b32 v27, v5 offset:32608                           // 000000006ED0: D86C7F60 1B000005
	v_mfma_f32_16x16x32_fp8_fp8 v[168:171], a[78:79], v[42:43], v[168:171]// 000000006ED8: D3F300A8 0EA2554E
	v_mfma_f32_16x16x32_fp8_fp8 v[172:175], a[80:81], v[42:43], v[172:175]// 000000006EE0: D3F300AC 0EB25550
	ds_read_b128 a[72:75], v4 offset:18560                     // 000000006EE8: DBFE4880 48000004
	ds_read_b128 a[76:79], v4 offset:18816                     // 000000006EF0: DBFE4980 4C000004
	v_mfma_f32_16x16x32_fp8_fp8 v[176:179], a[82:83], v[42:43], v[176:179]// 000000006EF8: D3F300B0 0EC25552
	v_mfma_f32_16x16x32_fp8_fp8 v[180:183], a[84:85], v[42:43], v[180:183]// 000000006F00: D3F300B4 0ED25554
	s_waitcnt lgkmcnt(2)                                       // 000000006F08: BF8CC27F
	v_perm_b32 v32, v22, v20, s52                              // 000000006F0C: D1ED0020 00D22916
	v_perm_b32 v33, v22, v20, s53                              // 000000006F14: D1ED0021 00D62916
	v_perm_b32 v34, v23, v21, s52                              // 000000006F1C: D1ED0022 00D22B17
	v_perm_b32 v35, v23, v21, s53                              // 000000006F24: D1ED0023 00D62B17
	v_perm_b32 v28, v34, v32, s54                              // 000000006F2C: D1ED001C 00DA4122
	v_perm_b32 v36, v34, v32, s55                              // 000000006F34: D1ED0024 00DE4122
	v_perm_b32 v30, v35, v33, s54                              // 000000006F3C: D1ED001E 00DA4323
	v_perm_b32 v38, v35, v33, s55                              // 000000006F44: D1ED0026 00DE4323
	v_mfma_f32_16x16x32_fp8_fp8 v[184:187], a[86:87], v[42:43], v[184:187]// 000000006F4C: D3F300B8 0EE25556
	v_mfma_f32_16x16x32_fp8_fp8 v[188:191], a[88:89], v[42:43], v[188:191]// 000000006F54: D3F300BC 0EF25558
	v_perm_b32 v32, v26, v24, s52                              // 000000006F5C: D1ED0020 00D2311A
	v_perm_b32 v33, v26, v24, s53                              // 000000006F64: D1ED0021 00D6311A
	v_perm_b32 v34, v27, v25, s52                              // 000000006F6C: D1ED0022 00D2331B
	v_perm_b32 v35, v27, v25, s53                              // 000000006F74: D1ED0023 00D6331B
	v_perm_b32 v29, v34, v32, s54                              // 000000006F7C: D1ED001D 00DA4122
	v_perm_b32 v37, v34, v32, s55                              // 000000006F84: D1ED0025 00DE4122
	v_perm_b32 v31, v35, v33, s54                              // 000000006F8C: D1ED001F 00DA4323
	v_perm_b32 v39, v35, v33, s55                              // 000000006F94: D1ED0027 00DE4323
	v_mfma_f32_16x16x32_fp8_fp8 v[192:195], a[90:91], v[42:43], v[192:195]// 000000006F9C: D3F300C0 0F02555A
	v_mfma_f32_16x16x32_fp8_fp8 v[196:199], a[92:93], v[42:43], v[196:199]// 000000006FA4: D3F300C4 0F12555C
	ds_write_b128 v6, v[28:31] offset:37120                    // 000000006FAC: D9BE9100 00001C06
	v_mfma_f32_16x16x32_fp8_fp8 v[200:203], a[94:95], v[42:43], v[200:203]// 000000006FB4: D3F300C8 0F22555E
	v_mfma_f32_16x16x32_fp8_fp8 v[204:207], a[96:97], v[42:43], v[204:207]// 000000006FBC: D3F300CC 0F325560
	ds_write_b128 v6, v[36:39] offset:38144                    // 000000006FC4: D9BE9500 00002406
	v_mfma_f32_16x16x32_fp8_fp8 v[208:211], a[98:99], v[42:43], v[208:211]// 000000006FCC: D3F300D0 0F425562
	v_mfma_f32_16x16x32_fp8_fp8 v[212:215], a[100:101], v[42:43], v[212:215]// 000000006FD4: D3F300D4 0F525564
	v_mfma_f32_16x16x32_fp8_fp8 v[216:219], a[102:103], v[42:43], v[216:219]// 000000006FDC: D3F300D8 0F625566
	v_mfma_f32_16x16x32_fp8_fp8 v[220:223], a[104:105], v[42:43], v[220:223]// 000000006FE4: D3F300DC 0F725568
	ds_read_b32 v20, v5 offset:19584                           // 000000006FEC: D86C4C80 14000005
	ds_read_b32 v21, v5 offset:24224                           // 000000006FF4: D86C5EA0 15000005
	ds_read_b32 v22, v5 offset:28864                           // 000000006FFC: D86C70C0 16000005
	ds_read_b32 v23, v5 offset:33504                           // 000000007004: D86C82E0 17000005
	v_mfma_f32_16x16x32_fp8_fp8 v[224:227], a[106:107], v[42:43], v[224:227]// 00000000700C: D3F300E0 0F82556A
	v_mfma_f32_16x16x32_fp8_fp8 v[228:231], a[108:109], v[42:43], v[228:231]// 000000007014: D3F300E4 0F92556C
	ds_read_b32 v24, v5 offset:19712                           // 00000000701C: D86C4D00 18000005
	ds_read_b32 v25, v5 offset:24352                           // 000000007024: D86C5F20 19000005
	ds_read_b32 v26, v5 offset:28992                           // 00000000702C: D86C7140 1A000005
	ds_read_b32 v27, v5 offset:33632                           // 000000007034: D86C8360 1B000005
	v_mfma_f32_16x16x32_fp8_fp8 v[232:235], a[110:111], v[42:43], v[232:235]// 00000000703C: D3F300E8 0FA2556E
	v_mfma_f32_16x16x32_fp8_fp8 v[236:239], a[112:113], v[42:43], v[236:239]// 000000007044: D3F300EC 0FB25570
	ds_read_b128 a[80:83], v4 offset:19072                     // 00000000704C: DBFE4A80 50000004
	ds_read_b128 a[84:87], v4 offset:19328                     // 000000007054: DBFE4B80 54000004
	v_mfma_f32_16x16x32_fp8_fp8 v[240:243], a[114:115], v[42:43], v[240:243]// 00000000705C: D3F300F0 0FC25572
	v_mfma_f32_16x16x32_fp8_fp8 v[244:247], a[116:117], v[42:43], v[244:247]// 000000007064: D3F300F4 0FD25574
	v_mfma_f32_16x16x32_fp8_fp8 v[248:251], a[118:119], v[42:43], v[248:251]// 00000000706C: D3F300F8 0FE25576
	v_mfma_f32_16x16x32_fp8_fp8 v[252:255], a[120:121], v[42:43], v[252:255]// 000000007074: D3F300FC 0FF25578
	ds_read_b128 a[88:91], v4 offset:19584                     // 00000000707C: DBFE4C80 58000004
	ds_read_b128 a[92:95], v4 offset:19840                     // 000000007084: DBFE4D80 5C000004
	v_mfma_f32_16x16x32_fp8_fp8 a[172:175], a[122:123], v[42:43], a[172:175]// 00000000708C: D3F380AC 0EB2557A
	v_mfma_f32_16x16x32_fp8_fp8 a[176:179], a[124:125], v[42:43], a[176:179]// 000000007094: D3F380B0 0EC2557C
	v_mfma_f32_16x16x32_fp8_fp8 a[180:183], a[126:127], v[42:43], a[180:183]// 00000000709C: D3F380B4 0ED2557E
	v_mfma_f32_16x16x32_fp8_fp8 a[184:187], a[128:129], v[42:43], a[184:187]// 0000000070A4: D3F380B8 0EE25580
	ds_read_b128 a[96:99], v4 offset:20096                     // 0000000070AC: DBFE4E80 60000004
	ds_read_b128 a[100:103], v4 offset:20352                   // 0000000070B4: DBFE4F80 64000004
	v_mfma_f32_16x16x32_fp8_fp8 a[188:191], a[130:131], v[42:43], a[188:191]// 0000000070BC: D3F380BC 0EF25582
	v_mfma_f32_16x16x32_fp8_fp8 a[192:195], a[132:133], v[42:43], a[192:195]// 0000000070C4: D3F380C0 0F025584
	v_mfma_f32_16x16x32_fp8_fp8 a[196:199], a[134:135], v[42:43], a[196:199]// 0000000070CC: D3F380C4 0F125586
	s_nop 0                                                    // 0000000070D4: BF800000
	s_addk_i32 s70, 0x1                                        // 0000000070D8: B7460001
	s_cmp_lt_i32 s70, s71                                      // 0000000070DC: BF044746
	s_cbranch_scc0 label_0ED6                                  // 0000000070E0: BF84FB5D
	s_waitcnt lgkmcnt(4)                                       // 0000000070E4: BF8CC47F
	v_mfma_f32_16x16x32_fp8_fp8 v[40:43], a[72:73], a[0:1], 0  // 0000000070E8: D3F30028 1A020148
	buffer_load_dword v11, v8, s[24:27], 0 offen               // 0000000070F0: E0501000 80060B08
	v_mfma_f32_16x16x32_fp8_fp8 v[40:43], a[74:75], a[2:3], v[40:43]// 0000000070F8: D3F30028 1CA2054A
	ds_read_b128 a[104:107], v4 offset:20608                   // 000000007100: DBFE5080 68000004
	ds_read_b128 a[108:111], v4 offset:18688                   // 000000007108: DBFE4900 6C000004
	v_mfma_f32_16x16x32_fp8_fp8 v[40:43], a[76:77], a[4:5], v[40:43]// 000000007110: D3F30028 1CA2094C
	v_mfma_f32_16x16x32_fp8_fp8 v[40:43], a[78:79], a[6:7], v[40:43]// 000000007118: D3F30028 1CA20D4E
	v_mfma_f32_16x16x32_fp8_fp8 v[40:43], a[80:81], a[8:9], v[40:43]// 000000007120: D3F30028 1CA21150
	v_mfma_f32_16x16x32_fp8_fp8 v[40:43], a[82:83], a[10:11], v[40:43]// 000000007128: D3F30028 1CA21552
	ds_read_b128 a[112:115], v4 offset:18944                   // 000000007130: DBFE4A00 70000004
	ds_read_b128 a[116:119], v4 offset:19200                   // 000000007138: DBFE4B00 74000004
	v_mfma_f32_16x16x32_fp8_fp8 v[40:43], a[84:85], a[12:13], v[40:43]// 000000007140: D3F30028 1CA21954
	v_mfma_f32_16x16x32_fp8_fp8 v[40:43], a[86:87], a[14:15], v[40:43]// 000000007148: D3F30028 1CA21D56
	s_waitcnt lgkmcnt(4)                                       // 000000007150: BF8CC47F
	v_mfma_f32_16x16x32_fp8_fp8 v[40:43], a[88:89], a[16:17], v[40:43]// 000000007154: D3F30028 1CA22158
	v_mfma_f32_16x16x32_fp8_fp8 v[40:43], a[90:91], a[18:19], v[40:43]// 00000000715C: D3F30028 1CA2255A
	ds_read_b128 a[120:123], v4 offset:19456                   // 000000007164: DBFE4C00 78000004
	ds_read_b128 a[124:127], v4 offset:19712                   // 00000000716C: DBFE4D00 7C000004
	v_mfma_f32_16x16x32_fp8_fp8 v[40:43], a[92:93], a[20:21], v[40:43]// 000000007174: D3F30028 1CA2295C
	v_mfma_f32_16x16x32_fp8_fp8 v[40:43], a[94:95], a[22:23], v[40:43]// 00000000717C: D3F30028 1CA22D5E
	v_mfma_f32_16x16x32_fp8_fp8 v[40:43], a[96:97], a[24:25], v[40:43]// 000000007184: D3F30028 1CA23160
	v_mfma_f32_16x16x32_fp8_fp8 v[40:43], a[98:99], a[26:27], v[40:43]// 00000000718C: D3F30028 1CA23562
	ds_read_b128 a[128:131], v4 offset:19968                   // 000000007194: DBFE4E00 80000004
	ds_read_b128 a[132:135], v4 offset:20224                   // 00000000719C: DBFE4F00 84000004
	v_mfma_f32_16x16x32_fp8_fp8 v[40:43], a[100:101], a[28:29], v[40:43]// 0000000071A4: D3F30028 1CA23964
	v_mfma_f32_16x16x32_fp8_fp8 v[40:43], a[102:103], a[30:31], v[40:43]// 0000000071AC: D3F30028 1CA23D66
	s_waitcnt lgkmcnt(4)                                       // 0000000071B4: BF8CC47F
	s_barrier                                                  // 0000000071B8: BF8A0000
	v_mfma_f32_16x16x32_fp8_fp8 v[40:43], a[104:105], a[32:33], v[40:43]// 0000000071BC: D3F30028 1CA24168
	v_mfma_f32_16x16x32_fp8_fp8 v[40:43], a[106:107], a[34:35], v[40:43]// 0000000071C4: D3F30028 1CA2456A
	ds_read_b128 a[136:139], v4 offset:20480                   // 0000000071CC: DBFE5000 88000004
	ds_read_b128 a[140:143], v4 offset:20736                   // 0000000071D4: DBFE5100 8C000004
	v_mfma_f32_16x16x32_fp8_fp8 v[44:47], a[108:109], a[0:1], 0// 0000000071DC: D3F3002C 1A02016C
	buffer_load_dword v18, s[20:23], 0 offen lds               // 0000000071E4: E0511000 80050012
	s_add_u32 m0, 0, s37                                       // 0000000071EC: 807C2580
	v_mfma_f32_16x16x32_fp8_fp8 v[44:47], a[110:111], a[2:3], v[44:47]// 0000000071F0: D3F3002C 1CB2056E
	v_perm_b32 v32, v22, v20, s52                              // 0000000071F8: D1ED0020 00D22916
	v_perm_b32 v33, v22, v20, s53                              // 000000007200: D1ED0021 00D62916
	v_perm_b32 v34, v23, v21, s52                              // 000000007208: D1ED0022 00D22B17
	v_perm_b32 v35, v23, v21, s53                              // 000000007210: D1ED0023 00D62B17
	v_perm_b32 v28, v34, v32, s54                              // 000000007218: D1ED001C 00DA4122
	v_perm_b32 v36, v34, v32, s55                              // 000000007220: D1ED0024 00DE4122
	v_perm_b32 v30, v35, v33, s54                              // 000000007228: D1ED001E 00DA4323
	v_perm_b32 v38, v35, v33, s55                              // 000000007230: D1ED0026 00DE4323
	v_mfma_f32_16x16x32_fp8_fp8 v[44:47], a[112:113], a[4:5], v[44:47]// 000000007238: D3F3002C 1CB20970
	buffer_load_dword v19, s[20:23], 0 offen lds               // 000000007240: E0511000 80050013
	s_add_u32 m0, 0xc0, s36                                    // 000000007248: 807C24FF 000000C0
	v_mfma_f32_16x16x32_fp8_fp8 v[44:47], a[114:115], a[6:7], v[44:47]// 000000007250: D3F3002C 1CB20D72
	v_perm_b32 v32, v26, v24, s52                              // 000000007258: D1ED0020 00D2311A
	v_perm_b32 v33, v26, v24, s53                              // 000000007260: D1ED0021 00D6311A
	v_perm_b32 v34, v27, v25, s52                              // 000000007268: D1ED0022 00D2331B
	v_perm_b32 v35, v27, v25, s53                              // 000000007270: D1ED0023 00D6331B
	v_perm_b32 v29, v34, v32, s54                              // 000000007278: D1ED001D 00DA4122
	v_perm_b32 v37, v34, v32, s55                              // 000000007280: D1ED0025 00DE4122
	v_perm_b32 v31, v35, v33, s54                              // 000000007288: D1ED001F 00DA4323
	v_perm_b32 v39, v35, v33, s55                              // 000000007290: D1ED0027 00DE4323
	v_mfma_f32_16x16x32_fp8_fp8 v[44:47], a[116:117], a[8:9], v[44:47]// 000000007298: D3F3002C 1CB21174
	buffer_load_dword v18, s[20:23], 0 offen offset:64 lds     // 0000000072A0: E0511040 80050012
	s_add_u32 m0, 0xc0, s37                                    // 0000000072A8: 807C25FF 000000C0
	v_mfma_f32_16x16x32_fp8_fp8 v[44:47], a[118:119], a[10:11], v[44:47]// 0000000072B0: D3F3002C 1CB21576
	ds_write_b128 v6, v[28:31] offset:45312                    // 0000000072B8: D9BEB100 00001C06
	s_waitcnt lgkmcnt(1)                                       // 0000000072C0: BF8CC17F
	v_mfma_f32_16x16x32_fp8_fp8 v[44:47], a[120:121], a[12:13], v[44:47]// 0000000072C4: D3F3002C 1CB21978
	buffer_load_dword v19, s[20:23], 0 offen offset:64 lds     // 0000000072CC: E0511040 80050013
	s_add_u32 m0, 0x180, s36                                   // 0000000072D4: 807C24FF 00000180
	v_mfma_f32_16x16x32_fp8_fp8 v[44:47], a[122:123], a[14:15], v[44:47]// 0000000072DC: D3F3002C 1CB21D7A
	ds_write_b128 v6, v[36:39] offset:46336                    // 0000000072E4: D9BEB500 00002406
	v_mfma_f32_16x16x32_fp8_fp8 v[44:47], a[124:125], a[16:17], v[44:47]// 0000000072EC: D3F3002C 1CB2217C
	buffer_load_dword v18, s[20:23], 0 offen offset:128 lds    // 0000000072F4: E0511080 80050012
	s_add_u32 m0, 0x180, s37                                   // 0000000072FC: 807C25FF 00000180
	v_mfma_f32_16x16x32_fp8_fp8 v[44:47], a[126:127], a[18:19], v[44:47]// 000000007304: D3F3002C 1CB2257E
	v_mfma_f32_16x16x32_fp8_fp8 v[44:47], a[128:129], a[20:21], v[44:47]// 00000000730C: D3F3002C 1CB22980
	buffer_load_dword v19, s[20:23], 0 offen offset:128 lds    // 000000007314: E0511080 80050013
	s_add_u32 m0, 0x240, s36                                   // 00000000731C: 807C24FF 00000240
	v_mfma_f32_16x16x32_fp8_fp8 v[44:47], a[130:131], a[22:23], v[44:47]// 000000007324: D3F3002C 1CB22D82
	v_mfma_f32_16x16x32_fp8_fp8 v[44:47], a[132:133], a[24:25], v[44:47]// 00000000732C: D3F3002C 1CB23184
	buffer_load_dword v18, s[20:23], 0 offen offset:192 lds    // 000000007334: E05110C0 80050012
	s_add_u32 m0, 0x240, s37                                   // 00000000733C: 807C25FF 00000240
	v_mfma_f32_16x16x32_fp8_fp8 v[44:47], a[134:135], a[26:27], v[44:47]// 000000007344: D3F3002C 1CB23586
	v_mfma_f32_16x16x32_fp8_fp8 v[44:47], a[136:137], a[28:29], v[44:47]// 00000000734C: D3F3002C 1CB23988
	buffer_load_dword v19, s[20:23], 0 offen offset:192 lds    // 000000007354: E05110C0 80050013
	s_add_u32 m0, 0x300, s36                                   // 00000000735C: 807C24FF 00000300
	v_mfma_f32_16x16x32_fp8_fp8 v[44:47], a[138:139], a[30:31], v[44:47]// 000000007364: D3F3002C 1CB23D8A
	v_mfma_f32_16x16x32_fp8_fp8 v[44:47], a[140:141], a[32:33], v[44:47]// 00000000736C: D3F3002C 1CB2418C
	buffer_load_dword v18, s[20:23], 0 offen offset:256 lds    // 000000007374: E0511100 80050012
	s_add_u32 m0, 0x300, s37                                   // 00000000737C: 807C25FF 00000300
	v_mfma_f32_16x16x32_fp8_fp8 v[44:47], a[142:143], a[34:35], v[44:47]// 000000007384: D3F3002C 1CB2458E
	v_add_u32_e32 v8, s73, v8                                  // 00000000738C: 68101049
	s_waitcnt lgkmcnt(0)                                       // 000000007390: BF8CC07F
	s_barrier                                                  // 000000007394: BF8A0000
	v_mfma_f32_16x16x32_fp8_fp8 v[48:51], a[72:73], a[36:37], 0// 000000007398: D3F30030 1A024948
	v_mfma_f32_16x16x32_fp8_fp8 v[48:51], a[74:75], a[38:39], v[48:51]// 0000000073A0: D3F30030 1CC24D4A
	v_max3_f32 v24, v40, v41, v40                              // 0000000073A8: D1D30018 04A25328
	v_max3_f32 v24, v42, v43, v24                              // 0000000073B0: D1D30018 0462572A
	v_max3_f32 v24, v44, v45, v24                              // 0000000073B8: D1D30018 04625B2C
	v_max3_f32 v24, v46, v47, v24                              // 0000000073C0: D1D30018 04625F2E
	ds_write_b32 v3, v24 offset:53504                          // 0000000073C8: D81AD100 00001803
	v_mfma_f32_16x16x32_fp8_fp8 v[48:51], a[76:77], a[40:41], v[48:51]// 0000000073D0: D3F30030 1CC2514C
	buffer_load_dword v19, s[20:23], 0 offen offset:256 lds    // 0000000073D8: E0511100 80050013
	s_add_u32 m0, 0x3c0, s36                                   // 0000000073E0: 807C24FF 000003C0
	v_mfma_f32_16x16x32_fp8_fp8 v[48:51], a[78:79], a[42:43], v[48:51]// 0000000073E8: D3F30030 1CC2554E
	v_mfma_f32_16x16x32_fp8_fp8 v[48:51], a[80:81], a[44:45], v[48:51]// 0000000073F0: D3F30030 1CC25950
	buffer_load_dword v18, s[20:23], 0 offen offset:320 lds    // 0000000073F8: E0511140 80050012
	s_add_u32 m0, 0x3c0, s37                                   // 000000007400: 807C25FF 000003C0
	v_mfma_f32_16x16x32_fp8_fp8 v[48:51], a[82:83], a[46:47], v[48:51]// 000000007408: D3F30030 1CC25D52
	v_mfma_f32_16x16x32_fp8_fp8 v[48:51], a[84:85], a[48:49], v[48:51]// 000000007410: D3F30030 1CC26154
	s_waitcnt lgkmcnt(0)                                       // 000000007418: BF8CC07F
	ds_read_b32 v20, v2 offset:53504                           // 00000000741C: D86CD100 14000002
	ds_read_b32 v21, v2 offset:53568                           // 000000007424: D86CD140 15000002
	v_mfma_f32_16x16x32_fp8_fp8 v[48:51], a[86:87], a[50:51], v[48:51]// 00000000742C: D3F30030 1CC26556
	ds_read_b32 v22, v2 offset:53632                           // 000000007434: D86CD180 16000002
	ds_read_b32 v23, v2 offset:53696                           // 00000000743C: D86CD1C0 17000002
	v_mfma_f32_16x16x32_fp8_fp8 v[48:51], a[88:89], a[52:53], v[48:51]// 000000007444: D3F30030 1CC26958
	buffer_load_dword v19, s[20:23], 0 offen offset:320 lds    // 00000000744C: E0511140 80050013
	s_add_u32 m0, 0x480, s36                                   // 000000007454: 807C24FF 00000480
	v_mfma_f32_16x16x32_fp8_fp8 v[48:51], a[90:91], a[54:55], v[48:51]// 00000000745C: D3F30030 1CC26D5A
	v_mfma_f32_16x16x32_fp8_fp8 v[48:51], a[92:93], a[56:57], v[48:51]// 000000007464: D3F30030 1CC2715C
	buffer_load_dword v18, s[20:23], 0 offen offset:384 lds    // 00000000746C: E0511180 80050012
	s_add_u32 m0, 0x480, s37                                   // 000000007474: 807C25FF 00000480
	v_mfma_f32_16x16x32_fp8_fp8 v[48:51], a[94:95], a[58:59], v[48:51]// 00000000747C: D3F30030 1CC2755E
	v_mfma_f32_16x16x32_fp8_fp8 v[48:51], a[96:97], a[60:61], v[48:51]// 000000007484: D3F30030 1CC27960
	buffer_load_dword v19, s[20:23], 0 offen offset:384 lds    // 00000000748C: E0511180 80050013
	s_add_u32 m0, 0x540, s36                                   // 000000007494: 807C24FF 00000540
	v_mfma_f32_16x16x32_fp8_fp8 v[48:51], a[98:99], a[62:63], v[48:51]// 00000000749C: D3F30030 1CC27D62
	v_mfma_f32_16x16x32_fp8_fp8 v[48:51], a[100:101], a[64:65], v[48:51]// 0000000074A4: D3F30030 1CC28164
	s_waitcnt lgkmcnt(0)                                       // 0000000074AC: BF8CC07F
	v_max3_f32 v24, v20, v21, v24                              // 0000000074B0: D1D30018 04622B14
	v_max3_f32 v24, v22, v23, v24                              // 0000000074B8: D1D30018 04622F16
	v_mfma_f32_16x16x32_fp8_fp8 v[48:51], a[102:103], a[66:67], v[48:51]// 0000000074C0: D3F30030 1CC28566
	v_mfma_f32_16x16x32_fp8_fp8 v[48:51], a[104:105], a[68:69], v[48:51]// 0000000074C8: D3F30030 1CC28968
	buffer_load_dword v18, s[20:23], 0 offen offset:448 lds    // 0000000074D0: E05111C0 80050012
	s_add_u32 m0, 0x540, s37                                   // 0000000074D8: 807C25FF 00000540
	v_mfma_f32_16x16x32_fp8_fp8 v[48:51], a[106:107], a[70:71], v[48:51]// 0000000074E0: D3F30030 1CC28D6A
	v_mfma_f32_16x16x32_fp8_fp8 v[52:55], a[108:109], a[36:37], 0// 0000000074E8: D3F30034 1A02496C
	buffer_load_dword v19, s[20:23], 0 offen offset:448 lds    // 0000000074F0: E05111C0 80050013
	s_add_u32 m0, 0x600, s36                                   // 0000000074F8: 807C24FF 00000600
	v_mfma_f32_16x16x32_fp8_fp8 v[52:55], a[110:111], a[38:39], v[52:55]// 000000007500: D3F30034 1CD24D6E
	v_mfma_f32_16x16x32_fp8_fp8 v[52:55], a[112:113], a[40:41], v[52:55]// 000000007508: D3F30034 1CD25170
	buffer_load_dword v18, s[20:23], 0 offen offset:512 lds    // 000000007510: E0511200 80050012
	s_add_u32 m0, 0x600, s37                                   // 000000007518: 807C25FF 00000600
	v_mfma_f32_16x16x32_fp8_fp8 v[52:55], a[114:115], a[42:43], v[52:55]// 000000007520: D3F30034 1CD25572
	ds_read_b128 a[72:75], v7 offset:37120                     // 000000007528: DBFE9100 48000007
	ds_read_b128 a[76:79], v7 offset:38144                     // 000000007530: DBFE9500 4C000007
	v_mfma_f32_16x16x32_fp8_fp8 v[52:55], a[116:117], a[44:45], v[52:55]// 000000007538: D3F30034 1CD25974
	v_mfma_f32_16x16x32_fp8_fp8 v[52:55], a[118:119], a[46:47], v[52:55]// 000000007540: D3F30034 1CD25D76
	v_mfma_f32_16x16x32_fp8_fp8 v[52:55], a[120:121], a[48:49], v[52:55]// 000000007548: D3F30034 1CD26178
	buffer_load_dword v19, s[20:23], 0 offen offset:512 lds    // 000000007550: E0511200 80050013
	s_add_u32 m0, 0x6c0, s36                                   // 000000007558: 807C24FF 000006C0
	v_mfma_f32_16x16x32_fp8_fp8 v[52:55], a[122:123], a[50:51], v[52:55]// 000000007560: D3F30034 1CD2657A
	ds_read_b128 a[80:83], v7 offset:39168                     // 000000007568: DBFE9900 50000007
	ds_read_b128 a[84:87], v7 offset:40192                     // 000000007570: DBFE9D00 54000007
	v_mfma_f32_16x16x32_fp8_fp8 v[52:55], a[124:125], a[52:53], v[52:55]// 000000007578: D3F30034 1CD2697C
	v_mfma_f32_16x16x32_fp8_fp8 v[52:55], a[126:127], a[54:55], v[52:55]// 000000007580: D3F30034 1CD26D7E
	v_mfma_f32_16x16x32_fp8_fp8 v[52:55], a[128:129], a[56:57], v[52:55]// 000000007588: D3F30034 1CD27180
	v_mfma_f32_16x16x32_fp8_fp8 v[52:55], a[130:131], a[58:59], v[52:55]// 000000007590: D3F30034 1CD27582
	ds_read_b128 a[88:91], v7 offset:41216                     // 000000007598: DBFEA100 58000007
	ds_read_b128 a[92:95], v7 offset:42240                     // 0000000075A0: DBFEA500 5C000007
	v_mfma_f32_16x16x32_fp8_fp8 v[52:55], a[132:133], a[60:61], v[52:55]// 0000000075A8: D3F30034 1CD27984
	v_mfma_f32_16x16x32_fp8_fp8 v[52:55], a[134:135], a[62:63], v[52:55]// 0000000075B0: D3F30034 1CD27D86
	v_mfma_f32_16x16x32_fp8_fp8 v[52:55], a[136:137], a[64:65], v[52:55]// 0000000075B8: D3F30034 1CD28188
	v_mfma_f32_16x16x32_fp8_fp8 v[52:55], a[138:139], a[66:67], v[52:55]// 0000000075C0: D3F30034 1CD2858A
	ds_read_b128 a[96:99], v7 offset:43264                     // 0000000075C8: DBFEA900 60000007
	ds_read_b128 a[100:103], v7 offset:44288                   // 0000000075D0: DBFEAD00 64000007
	v_mfma_f32_16x16x32_fp8_fp8 v[52:55], a[140:141], a[68:69], v[52:55]// 0000000075D8: D3F30034 1CD2898C
	v_mfma_f32_16x16x32_fp8_fp8 v[52:55], a[142:143], a[70:71], v[52:55]// 0000000075E0: D3F30034 1CD28D8E
	v_mov_b32_e32 v25, 0xff7fffff                              // 0000000075E8: 7E3202FF FF7FFFFF
	v_cmp_eq_u32_e64 s[38:39], v25, v12                        // 0000000075F0: D0CA0026 00021919
	v_max_f32_e32 v20, v24, v12                                // 0000000075F8: 16281918
	v_sub_f32_e32 v16, v12, v20                                // 0000000075FC: 0420290C
	v_cndmask_b32_e64 v16, v16, 0, s[38:39]                    // 000000007600: D1000010 00990110
	v_mov_b32_e32 v12, v20                                     // 000000007608: 7E180314
	v_mul_f32_e32 v21, s5, v20                                 // 00000000760C: 0A2A2805
	v_mul_f32_e32 v16, s5, v16                                 // 000000007610: 0A202005
	v_exp_f32_e32 v16, v16                                     // 000000007614: 7E204110
	v_fma_f32 v40, v40, s5, -v21                               // 000000007618: D1CB0028 84540B28
	v_fma_f32 v41, v41, s5, -v21                               // 000000007620: D1CB0029 84540B29
	v_fma_f32 v42, v42, s5, -v21                               // 000000007628: D1CB002A 84540B2A
	v_fma_f32 v43, v43, s5, -v21                               // 000000007630: D1CB002B 84540B2B
	v_fma_f32 v44, v44, s5, -v21                               // 000000007638: D1CB002C 84540B2C
	v_fma_f32 v45, v45, s5, -v21                               // 000000007640: D1CB002D 84540B2D
	v_fma_f32 v46, v46, s5, -v21                               // 000000007648: D1CB002E 84540B2E
	v_fma_f32 v47, v47, s5, -v21                               // 000000007650: D1CB002F 84540B2F
	v_exp_f32_e32 v40, v40                                     // 000000007658: 7E504128
	v_exp_f32_e32 v41, v41                                     // 00000000765C: 7E524129
	v_exp_f32_e32 v42, v42                                     // 000000007660: 7E54412A
	v_exp_f32_e32 v43, v43                                     // 000000007664: 7E56412B
	v_exp_f32_e32 v44, v44                                     // 000000007668: 7E58412C
	v_exp_f32_e32 v45, v45                                     // 00000000766C: 7E5A412D
	v_exp_f32_e32 v46, v46                                     // 000000007670: 7E5C412E
	v_exp_f32_e32 v47, v47                                     // 000000007674: 7E5E412F
	v_mul_f32_e32 v14, v16, v14                                // 000000007678: 0A1C1D10
	v_mov_b32_e32 v22, v40                                     // 00000000767C: 7E2C0328
	v_add_f32_e32 v22, v41, v22                                // 000000007680: 022C2D29
	v_add_f32_e32 v22, v42, v22                                // 000000007684: 022C2D2A
	v_add_f32_e32 v22, v43, v22                                // 000000007688: 022C2D2B
	v_add_f32_e32 v22, v44, v22                                // 00000000768C: 022C2D2C
	v_add_f32_e32 v22, v45, v22                                // 000000007690: 022C2D2D
	v_add_f32_e32 v22, v46, v22                                // 000000007694: 022C2D2E
	v_add_f32_e32 v22, v47, v22                                // 000000007698: 022C2D2F
	v_add_f32_e32 v14, v22, v14                                // 00000000769C: 021C1D16
	v_cvt_pk_fp8_f32 v40, v40, v41                             // 0000000076A0: D2A20028 00025328
	v_cvt_pk_fp8_f32 v40, v42, v43 op_sel:[0,0,1]              // 0000000076A8: D2A24028 0002572A
	v_cvt_pk_fp8_f32 v41, v44, v45                             // 0000000076B0: D2A20029 00025B2C
	v_cvt_pk_fp8_f32 v41, v46, v47 op_sel:[0,0,1]              // 0000000076B8: D2A24029 00025F2E
	s_nop 0                                                    // 0000000076C0: BF800000
	v_mul_u32_u24_dpp v18, v10, v9 row_newbcast:0 row_mask:0xf bank_mask:0xf// 0000000076C4: 102412FA FF01500A
	v_mul_u32_u24_dpp v19, v10, v9 row_newbcast:8 row_mask:0xf bank_mask:0xf// 0000000076CC: 102612FA FF01580A
	v_add_u32_e32 v18, v18, v1                                 // 0000000076D4: 68240312
	v_add_u32_e32 v19, v19, v1                                 // 0000000076D8: 68260313
	s_mov_b32 m0, s34                                          // 0000000076DC: BEFC0022
	v_mov_b32_e32 v22, v16                                     // 0000000076E0: 7E2C0310
	v_mov_b32_e32 v23, v16                                     // 0000000076E4: 7E2E0310
	v_pk_mul_f32 v[56:57], v[22:23], v[56:57]                  // 0000000076E8: D3B14038 18027116
	v_pk_mul_f32 v[58:59], v[22:23], v[58:59]                  // 0000000076F0: D3B1403A 18027516
	v_pk_mul_f32 v[60:61], v[22:23], v[60:61]                  // 0000000076F8: D3B1403C 18027916
	v_pk_mul_f32 v[62:63], v[22:23], v[62:63]                  // 000000007700: D3B1403E 18027D16
	v_pk_mul_f32 v[64:65], v[22:23], v[64:65]                  // 000000007708: D3B14040 18028116
	v_pk_mul_f32 v[66:67], v[22:23], v[66:67]                  // 000000007710: D3B14042 18028516
	v_pk_mul_f32 v[68:69], v[22:23], v[68:69]                  // 000000007718: D3B14044 18028916
	v_pk_mul_f32 v[70:71], v[22:23], v[70:71]                  // 000000007720: D3B14046 18028D16
	v_pk_mul_f32 v[72:73], v[22:23], v[72:73]                  // 000000007728: D3B14048 18029116
	v_pk_mul_f32 v[74:75], v[22:23], v[74:75]                  // 000000007730: D3B1404A 18029516
	v_pk_mul_f32 v[76:77], v[22:23], v[76:77]                  // 000000007738: D3B1404C 18029916
	v_pk_mul_f32 v[78:79], v[22:23], v[78:79]                  // 000000007740: D3B1404E 18029D16
	v_pk_mul_f32 v[80:81], v[22:23], v[80:81]                  // 000000007748: D3B14050 1802A116
	v_pk_mul_f32 v[82:83], v[22:23], v[82:83]                  // 000000007750: D3B14052 1802A516
	v_pk_mul_f32 v[84:85], v[22:23], v[84:85]                  // 000000007758: D3B14054 1802A916
	v_pk_mul_f32 v[86:87], v[22:23], v[86:87]                  // 000000007760: D3B14056 1802AD16
	v_pk_mul_f32 v[88:89], v[22:23], v[88:89]                  // 000000007768: D3B14058 1802B116
	v_pk_mul_f32 v[90:91], v[22:23], v[90:91]                  // 000000007770: D3B1405A 1802B516
	v_pk_mul_f32 v[92:93], v[22:23], v[92:93]                  // 000000007778: D3B1405C 1802B916
	v_pk_mul_f32 v[94:95], v[22:23], v[94:95]                  // 000000007780: D3B1405E 1802BD16
	v_pk_mul_f32 v[96:97], v[22:23], v[96:97]                  // 000000007788: D3B14060 1802C116
	v_pk_mul_f32 v[98:99], v[22:23], v[98:99]                  // 000000007790: D3B14062 1802C516
	v_pk_mul_f32 v[100:101], v[22:23], v[100:101]              // 000000007798: D3B14064 1802C916
	v_pk_mul_f32 v[102:103], v[22:23], v[102:103]              // 0000000077A0: D3B14066 1802CD16
	v_pk_mul_f32 v[104:105], v[22:23], v[104:105]              // 0000000077A8: D3B14068 1802D116
	v_pk_mul_f32 v[106:107], v[22:23], v[106:107]              // 0000000077B0: D3B1406A 1802D516
	v_pk_mul_f32 v[108:109], v[22:23], v[108:109]              // 0000000077B8: D3B1406C 1802D916
	v_pk_mul_f32 v[110:111], v[22:23], v[110:111]              // 0000000077C0: D3B1406E 1802DD16
	v_pk_mul_f32 v[112:113], v[22:23], v[112:113]              // 0000000077C8: D3B14070 1802E116
	v_pk_mul_f32 v[114:115], v[22:23], v[114:115]              // 0000000077D0: D3B14072 1802E516
	v_pk_mul_f32 v[116:117], v[22:23], v[116:117]              // 0000000077D8: D3B14074 1802E916
	v_pk_mul_f32 v[118:119], v[22:23], v[118:119]              // 0000000077E0: D3B14076 1802ED16
	v_pk_mul_f32 v[120:121], v[22:23], v[120:121]              // 0000000077E8: D3B14078 1802F116
	v_pk_mul_f32 v[122:123], v[22:23], v[122:123]              // 0000000077F0: D3B1407A 1802F516
	v_pk_mul_f32 v[124:125], v[22:23], v[124:125]              // 0000000077F8: D3B1407C 1802F916
	v_pk_mul_f32 v[126:127], v[22:23], v[126:127]              // 000000007800: D3B1407E 1802FD16
	v_pk_mul_f32 v[128:129], v[22:23], v[128:129]              // 000000007808: D3B14080 18030116
	v_pk_mul_f32 v[130:131], v[22:23], v[130:131]              // 000000007810: D3B14082 18030516
	v_pk_mul_f32 v[132:133], v[22:23], v[132:133]              // 000000007818: D3B14084 18030916
	v_pk_mul_f32 v[134:135], v[22:23], v[134:135]              // 000000007820: D3B14086 18030D16
	v_pk_mul_f32 v[136:137], v[22:23], v[136:137]              // 000000007828: D3B14088 18031116
	v_pk_mul_f32 v[138:139], v[22:23], v[138:139]              // 000000007830: D3B1408A 18031516
	v_pk_mul_f32 v[140:141], v[22:23], v[140:141]              // 000000007838: D3B1408C 18031916
	v_pk_mul_f32 v[142:143], v[22:23], v[142:143]              // 000000007840: D3B1408E 18031D16
	v_pk_mul_f32 v[144:145], v[22:23], v[144:145]              // 000000007848: D3B14090 18032116
	v_pk_mul_f32 v[146:147], v[22:23], v[146:147]              // 000000007850: D3B14092 18032516
	v_pk_mul_f32 v[148:149], v[22:23], v[148:149]              // 000000007858: D3B14094 18032916
	v_pk_mul_f32 v[150:151], v[22:23], v[150:151]              // 000000007860: D3B14096 18032D16
	v_pk_mul_f32 v[152:153], v[22:23], v[152:153]              // 000000007868: D3B14098 18033116
	v_pk_mul_f32 v[154:155], v[22:23], v[154:155]              // 000000007870: D3B1409A 18033516
	v_accvgpr_read_b32 v20, a144                               // 000000007878: D3D84014 18000190
	v_accvgpr_read_b32 v21, a145                               // 000000007880: D3D84015 18000191
	v_pk_mul_f32 v[20:21], v[22:23], v[20:21]                  // 000000007888: D3B14014 18022916
	v_accvgpr_write_b32 a144, v20                              // 000000007890: D3D94090 18000114
	v_accvgpr_write_b32 a145, v21                              // 000000007898: D3D94091 18000115
	v_accvgpr_read_b32 v20, a146                               // 0000000078A0: D3D84014 18000192
	v_accvgpr_read_b32 v21, a147                               // 0000000078A8: D3D84015 18000193
	v_pk_mul_f32 v[20:21], v[22:23], v[20:21]                  // 0000000078B0: D3B14014 18022916
	v_accvgpr_write_b32 a146, v20                              // 0000000078B8: D3D94092 18000114
	v_accvgpr_write_b32 a147, v21                              // 0000000078C0: D3D94093 18000115
	v_accvgpr_read_b32 v20, a148                               // 0000000078C8: D3D84014 18000194
	v_accvgpr_read_b32 v21, a149                               // 0000000078D0: D3D84015 18000195
	v_pk_mul_f32 v[20:21], v[22:23], v[20:21]                  // 0000000078D8: D3B14014 18022916
	v_accvgpr_write_b32 a148, v20                              // 0000000078E0: D3D94094 18000114
	v_accvgpr_write_b32 a149, v21                              // 0000000078E8: D3D94095 18000115
	v_accvgpr_read_b32 v20, a150                               // 0000000078F0: D3D84014 18000196
	v_accvgpr_read_b32 v21, a151                               // 0000000078F8: D3D84015 18000197
	v_pk_mul_f32 v[20:21], v[22:23], v[20:21]                  // 000000007900: D3B14014 18022916
	v_accvgpr_write_b32 a150, v20                              // 000000007908: D3D94096 18000114
	v_accvgpr_write_b32 a151, v21                              // 000000007910: D3D94097 18000115
	v_accvgpr_read_b32 v20, a152                               // 000000007918: D3D84014 18000198
	v_accvgpr_read_b32 v21, a153                               // 000000007920: D3D84015 18000199
	v_pk_mul_f32 v[20:21], v[22:23], v[20:21]                  // 000000007928: D3B14014 18022916
	v_accvgpr_write_b32 a152, v20                              // 000000007930: D3D94098 18000114
	v_accvgpr_write_b32 a153, v21                              // 000000007938: D3D94099 18000115
	v_accvgpr_read_b32 v20, a154                               // 000000007940: D3D84014 1800019A
	v_accvgpr_read_b32 v21, a155                               // 000000007948: D3D84015 1800019B
	v_pk_mul_f32 v[20:21], v[22:23], v[20:21]                  // 000000007950: D3B14014 18022916
	v_accvgpr_write_b32 a154, v20                              // 000000007958: D3D9409A 18000114
	v_accvgpr_write_b32 a155, v21                              // 000000007960: D3D9409B 18000115
	v_accvgpr_read_b32 v20, a156                               // 000000007968: D3D84014 1800019C
	v_accvgpr_read_b32 v21, a157                               // 000000007970: D3D84015 1800019D
	v_pk_mul_f32 v[20:21], v[22:23], v[20:21]                  // 000000007978: D3B14014 18022916
	v_accvgpr_write_b32 a156, v20                              // 000000007980: D3D9409C 18000114
	v_accvgpr_write_b32 a157, v21                              // 000000007988: D3D9409D 18000115
	v_accvgpr_read_b32 v20, a158                               // 000000007990: D3D84014 1800019E
	v_accvgpr_read_b32 v21, a159                               // 000000007998: D3D84015 1800019F
	v_pk_mul_f32 v[20:21], v[22:23], v[20:21]                  // 0000000079A0: D3B14014 18022916
	v_accvgpr_write_b32 a158, v20                              // 0000000079A8: D3D9409E 18000114
	v_accvgpr_write_b32 a159, v21                              // 0000000079B0: D3D9409F 18000115
	v_accvgpr_read_b32 v20, a160                               // 0000000079B8: D3D84014 180001A0
	v_accvgpr_read_b32 v21, a161                               // 0000000079C0: D3D84015 180001A1
	v_pk_mul_f32 v[20:21], v[22:23], v[20:21]                  // 0000000079C8: D3B14014 18022916
	v_accvgpr_write_b32 a160, v20                              // 0000000079D0: D3D940A0 18000114
	v_accvgpr_write_b32 a161, v21                              // 0000000079D8: D3D940A1 18000115
	v_accvgpr_read_b32 v20, a162                               // 0000000079E0: D3D84014 180001A2
	v_accvgpr_read_b32 v21, a163                               // 0000000079E8: D3D84015 180001A3
	v_pk_mul_f32 v[20:21], v[22:23], v[20:21]                  // 0000000079F0: D3B14014 18022916
	v_accvgpr_write_b32 a162, v20                              // 0000000079F8: D3D940A2 18000114
	v_accvgpr_write_b32 a163, v21                              // 000000007A00: D3D940A3 18000115
	v_accvgpr_read_b32 v20, a164                               // 000000007A08: D3D84014 180001A4
	v_accvgpr_read_b32 v21, a165                               // 000000007A10: D3D84015 180001A5
	v_pk_mul_f32 v[20:21], v[22:23], v[20:21]                  // 000000007A18: D3B14014 18022916
	v_accvgpr_write_b32 a164, v20                              // 000000007A20: D3D940A4 18000114
	v_accvgpr_write_b32 a165, v21                              // 000000007A28: D3D940A5 18000115
	v_accvgpr_read_b32 v20, a166                               // 000000007A30: D3D84014 180001A6
	v_accvgpr_read_b32 v21, a167                               // 000000007A38: D3D84015 180001A7
	v_pk_mul_f32 v[20:21], v[22:23], v[20:21]                  // 000000007A40: D3B14014 18022916
	v_accvgpr_write_b32 a166, v20                              // 000000007A48: D3D940A6 18000114
	v_accvgpr_write_b32 a167, v21                              // 000000007A50: D3D940A7 18000115
	v_accvgpr_read_b32 v20, a168                               // 000000007A58: D3D84014 180001A8
	v_accvgpr_read_b32 v21, a169                               // 000000007A60: D3D84015 180001A9
	v_pk_mul_f32 v[20:21], v[22:23], v[20:21]                  // 000000007A68: D3B14014 18022916
	v_accvgpr_write_b32 a168, v20                              // 000000007A70: D3D940A8 18000114
	v_accvgpr_write_b32 a169, v21                              // 000000007A78: D3D940A9 18000115
	v_accvgpr_read_b32 v20, a170                               // 000000007A80: D3D84014 180001AA
	v_accvgpr_read_b32 v21, a171                               // 000000007A88: D3D84015 180001AB
	v_pk_mul_f32 v[20:21], v[22:23], v[20:21]                  // 000000007A90: D3B14014 18022916
	v_accvgpr_write_b32 a170, v20                              // 000000007A98: D3D940AA 18000114
	v_accvgpr_write_b32 a171, v21                              // 000000007AA0: D3D940AB 18000115
	s_waitcnt lgkmcnt(0)                                       // 000000007AA8: BF8CC07F
	v_mfma_f32_16x16x32_fp8_fp8 v[56:59], a[72:73], v[40:41], v[56:59]// 000000007AAC: D3F30038 0CE25148
	v_mfma_f32_16x16x32_fp8_fp8 v[60:63], a[74:75], v[40:41], v[60:63]// 000000007AB4: D3F3003C 0CF2514A
	ds_read_b128 a[104:107], v7 offset:45312                   // 000000007ABC: DBFEB100 68000007
	ds_read_b128 a[108:111], v7 offset:46336                   // 000000007AC4: DBFEB500 6C000007
	v_mfma_f32_16x16x32_fp8_fp8 v[64:67], a[76:77], v[40:41], v[64:67]// 000000007ACC: D3F30040 0D02514C
	v_mfma_f32_16x16x32_fp8_fp8 v[68:71], a[78:79], v[40:41], v[68:71]// 000000007AD4: D3F30044 0D12514E
	v_mfma_f32_16x16x32_fp8_fp8 v[72:75], a[80:81], v[40:41], v[72:75]// 000000007ADC: D3F30048 0D225150
	v_mfma_f32_16x16x32_fp8_fp8 v[76:79], a[82:83], v[40:41], v[76:79]// 000000007AE4: D3F3004C 0D325152
	ds_read_b128 a[112:115], v7 offset:47360                   // 000000007AEC: DBFEB900 70000007
	ds_read_b128 a[116:119], v7 offset:48384                   // 000000007AF4: DBFEBD00 74000007
	v_mfma_f32_16x16x32_fp8_fp8 v[80:83], a[84:85], v[40:41], v[80:83]// 000000007AFC: D3F30050 0D425154
	v_mfma_f32_16x16x32_fp8_fp8 v[84:87], a[86:87], v[40:41], v[84:87]// 000000007B04: D3F30054 0D525156
	v_mfma_f32_16x16x32_fp8_fp8 v[88:91], a[88:89], v[40:41], v[88:91]// 000000007B0C: D3F30058 0D625158
	v_mfma_f32_16x16x32_fp8_fp8 v[92:95], a[90:91], v[40:41], v[92:95]// 000000007B14: D3F3005C 0D72515A
	ds_read_b128 a[120:123], v7 offset:49408                   // 000000007B1C: DBFEC100 78000007
	ds_read_b128 a[124:127], v7 offset:50432                   // 000000007B24: DBFEC500 7C000007
	v_mfma_f32_16x16x32_fp8_fp8 v[96:99], a[92:93], v[40:41], v[96:99]// 000000007B2C: D3F30060 0D82515C
	v_mfma_f32_16x16x32_fp8_fp8 v[100:103], a[94:95], v[40:41], v[100:103]// 000000007B34: D3F30064 0D92515E
	v_mfma_f32_16x16x32_fp8_fp8 v[104:107], a[96:97], v[40:41], v[104:107]// 000000007B3C: D3F30068 0DA25160
	v_mfma_f32_16x16x32_fp8_fp8 v[108:111], a[98:99], v[40:41], v[108:111]// 000000007B44: D3F3006C 0DB25162
	ds_read_b128 a[128:131], v7 offset:51456                   // 000000007B4C: DBFEC900 80000007
	ds_read_b128 a[132:135], v7 offset:52480                   // 000000007B54: DBFECD00 84000007
	v_mfma_f32_16x16x32_fp8_fp8 v[112:115], a[100:101], v[40:41], v[112:115]// 000000007B5C: D3F30070 0DC25164
	v_mfma_f32_16x16x32_fp8_fp8 v[116:119], a[102:103], v[40:41], v[116:119]// 000000007B64: D3F30074 0DD25166
	s_waitcnt lgkmcnt(4)                                       // 000000007B6C: BF8CC47F
	v_mfma_f32_16x16x32_fp8_fp8 v[120:123], a[104:105], v[40:41], v[120:123]// 000000007B70: D3F30078 0DE25168
	v_max3_f32 v24, v48, v49, v48                              // 000000007B78: D1D30018 04C26330
	v_max3_f32 v24, v50, v51, v24                              // 000000007B80: D1D30018 04626732
	v_max3_f32 v24, v52, v53, v24                              // 000000007B88: D1D30018 04626B34
	v_max3_f32 v24, v54, v55, v24                              // 000000007B90: D1D30018 04626F36
	ds_write_b32 v3, v24 offset:54528                          // 000000007B98: D81AD500 00001803
	v_mfma_f32_16x16x32_fp8_fp8 v[124:127], a[106:107], v[40:41], v[124:127]// 000000007BA0: D3F3007C 0DF2516A
	v_mfma_f32_16x16x32_fp8_fp8 v[128:131], a[108:109], v[40:41], v[128:131]// 000000007BA8: D3F30080 0E02516C
	v_mfma_f32_16x16x32_fp8_fp8 v[132:135], a[110:111], v[40:41], v[132:135]// 000000007BB0: D3F30084 0E12516E
	v_mfma_f32_16x16x32_fp8_fp8 v[136:139], a[112:113], v[40:41], v[136:139]// 000000007BB8: D3F30088 0E225170
	v_mfma_f32_16x16x32_fp8_fp8 v[140:143], a[114:115], v[40:41], v[140:143]// 000000007BC0: D3F3008C 0E325172
	v_mfma_f32_16x16x32_fp8_fp8 v[144:147], a[116:117], v[40:41], v[144:147]// 000000007BC8: D3F30090 0E425174
	v_mfma_f32_16x16x32_fp8_fp8 v[148:151], a[118:119], v[40:41], v[148:151]// 000000007BD0: D3F30094 0E525176
	s_waitcnt lgkmcnt(0)                                       // 000000007BD8: BF8CC07F
	v_mfma_f32_16x16x32_fp8_fp8 v[152:155], a[120:121], v[40:41], v[152:155]// 000000007BDC: D3F30098 0E625178
	s_waitcnt lgkmcnt(0)                                       // 000000007BE4: BF8CC07F
	ds_read_b32 v20, v2 offset:54528                           // 000000007BE8: D86CD500 14000002
	ds_read_b32 v21, v2 offset:54592                           // 000000007BF0: D86CD540 15000002
	v_mfma_f32_16x16x32_fp8_fp8 a[144:147], a[122:123], v[40:41], a[144:147]// 000000007BF8: D3F38090 0E42517A
	ds_read_b32 v22, v2 offset:54656                           // 000000007C00: D86CD580 16000002
	ds_read_b32 v23, v2 offset:54720                           // 000000007C08: D86CD5C0 17000002
	v_mfma_f32_16x16x32_fp8_fp8 a[148:151], a[124:125], v[40:41], a[148:151]// 000000007C10: D3F38094 0E52517C
	v_mfma_f32_16x16x32_fp8_fp8 a[152:155], a[126:127], v[40:41], a[152:155]// 000000007C18: D3F38098 0E62517E
	v_mfma_f32_16x16x32_fp8_fp8 a[156:159], a[128:129], v[40:41], a[156:159]// 000000007C20: D3F3809C 0E725180
	v_mfma_f32_16x16x32_fp8_fp8 a[160:163], a[130:131], v[40:41], a[160:163]// 000000007C28: D3F380A0 0E825182
	v_mfma_f32_16x16x32_fp8_fp8 a[164:167], a[132:133], v[40:41], a[164:167]// 000000007C30: D3F380A4 0E925184
	v_mfma_f32_16x16x32_fp8_fp8 a[168:171], a[134:135], v[40:41], a[168:171]// 000000007C38: D3F380A8 0EA25186
	s_waitcnt lgkmcnt(0)                                       // 000000007C40: BF8CC07F
	v_max3_f32 v24, v20, v21, v24                              // 000000007C44: D1D30018 04622B14
	v_max3_f32 v24, v22, v23, v24                              // 000000007C4C: D1D30018 04622F16
	v_mov_b32_e32 v25, 0xff7fffff                              // 000000007C54: 7E3202FF FF7FFFFF
	v_cmp_eq_u32_e64 s[38:39], v25, v13                        // 000000007C5C: D0CA0026 00021B19
	v_max_f32_e32 v20, v24, v13                                // 000000007C64: 16281B18
	v_sub_f32_e32 v17, v13, v20                                // 000000007C68: 0422290D
	v_cndmask_b32_e64 v17, v17, 0, s[38:39]                    // 000000007C6C: D1000011 00990111
	v_mov_b32_e32 v13, v20                                     // 000000007C74: 7E1A0314
	v_mul_f32_e32 v21, s5, v20                                 // 000000007C78: 0A2A2805
	v_mul_f32_e32 v17, s5, v17                                 // 000000007C7C: 0A222205
	v_exp_f32_e32 v17, v17                                     // 000000007C80: 7E224111
	v_fma_f32 v48, v48, s5, -v21                               // 000000007C84: D1CB0030 84540B30
	v_fma_f32 v49, v49, s5, -v21                               // 000000007C8C: D1CB0031 84540B31
	v_fma_f32 v50, v50, s5, -v21                               // 000000007C94: D1CB0032 84540B32
	v_fma_f32 v51, v51, s5, -v21                               // 000000007C9C: D1CB0033 84540B33
	v_fma_f32 v52, v52, s5, -v21                               // 000000007CA4: D1CB0034 84540B34
	v_fma_f32 v53, v53, s5, -v21                               // 000000007CAC: D1CB0035 84540B35
	v_fma_f32 v54, v54, s5, -v21                               // 000000007CB4: D1CB0036 84540B36
	v_fma_f32 v55, v55, s5, -v21                               // 000000007CBC: D1CB0037 84540B37
	v_exp_f32_e32 v48, v48                                     // 000000007CC4: 7E604130
	v_exp_f32_e32 v49, v49                                     // 000000007CC8: 7E624131
	v_exp_f32_e32 v50, v50                                     // 000000007CCC: 7E644132
	v_exp_f32_e32 v51, v51                                     // 000000007CD0: 7E664133
	v_exp_f32_e32 v52, v52                                     // 000000007CD4: 7E684134
	v_exp_f32_e32 v53, v53                                     // 000000007CD8: 7E6A4135
	v_exp_f32_e32 v54, v54                                     // 000000007CDC: 7E6C4136
	v_exp_f32_e32 v55, v55                                     // 000000007CE0: 7E6E4137
	v_mul_f32_e32 v15, v17, v15                                // 000000007CE4: 0A1E1F11
	v_mov_b32_e32 v22, v48                                     // 000000007CE8: 7E2C0330
	v_add_f32_e32 v22, v49, v22                                // 000000007CEC: 022C2D31
	v_add_f32_e32 v22, v50, v22                                // 000000007CF0: 022C2D32
	v_add_f32_e32 v22, v51, v22                                // 000000007CF4: 022C2D33
	v_add_f32_e32 v22, v52, v22                                // 000000007CF8: 022C2D34
	v_add_f32_e32 v22, v53, v22                                // 000000007CFC: 022C2D35
	v_add_f32_e32 v22, v54, v22                                // 000000007D00: 022C2D36
	v_add_f32_e32 v22, v55, v22                                // 000000007D04: 022C2D37
	v_add_f32_e32 v15, v22, v15                                // 000000007D08: 021E1F16
	v_cvt_pk_fp8_f32 v42, v48, v49                             // 000000007D0C: D2A2002A 00026330
	v_cvt_pk_fp8_f32 v42, v50, v51 op_sel:[0,0,1]              // 000000007D14: D2A2402A 00026732
	v_cvt_pk_fp8_f32 v43, v52, v53                             // 000000007D1C: D2A2002B 00026B34
	v_cvt_pk_fp8_f32 v43, v54, v55 op_sel:[0,0,1]              // 000000007D24: D2A2402B 00026F36
	s_nop 0                                                    // 000000007D2C: BF800000
	v_mov_b32_e32 v22, v17                                     // 000000007D30: 7E2C0311
	v_mov_b32_e32 v23, v17                                     // 000000007D34: 7E2E0311
	v_pk_mul_f32 v[156:157], v[22:23], v[156:157]              // 000000007D38: D3B1409C 18033916
	v_pk_mul_f32 v[158:159], v[22:23], v[158:159]              // 000000007D40: D3B1409E 18033D16
	v_pk_mul_f32 v[160:161], v[22:23], v[160:161]              // 000000007D48: D3B140A0 18034116
	v_pk_mul_f32 v[162:163], v[22:23], v[162:163]              // 000000007D50: D3B140A2 18034516
	v_pk_mul_f32 v[164:165], v[22:23], v[164:165]              // 000000007D58: D3B140A4 18034916
	v_pk_mul_f32 v[166:167], v[22:23], v[166:167]              // 000000007D60: D3B140A6 18034D16
	v_pk_mul_f32 v[168:169], v[22:23], v[168:169]              // 000000007D68: D3B140A8 18035116
	v_pk_mul_f32 v[170:171], v[22:23], v[170:171]              // 000000007D70: D3B140AA 18035516
	v_pk_mul_f32 v[172:173], v[22:23], v[172:173]              // 000000007D78: D3B140AC 18035916
	v_pk_mul_f32 v[174:175], v[22:23], v[174:175]              // 000000007D80: D3B140AE 18035D16
	v_pk_mul_f32 v[176:177], v[22:23], v[176:177]              // 000000007D88: D3B140B0 18036116
	v_pk_mul_f32 v[178:179], v[22:23], v[178:179]              // 000000007D90: D3B140B2 18036516
	v_pk_mul_f32 v[180:181], v[22:23], v[180:181]              // 000000007D98: D3B140B4 18036916
	v_pk_mul_f32 v[182:183], v[22:23], v[182:183]              // 000000007DA0: D3B140B6 18036D16
	v_pk_mul_f32 v[184:185], v[22:23], v[184:185]              // 000000007DA8: D3B140B8 18037116
	v_pk_mul_f32 v[186:187], v[22:23], v[186:187]              // 000000007DB0: D3B140BA 18037516
	v_pk_mul_f32 v[188:189], v[22:23], v[188:189]              // 000000007DB8: D3B140BC 18037916
	v_pk_mul_f32 v[190:191], v[22:23], v[190:191]              // 000000007DC0: D3B140BE 18037D16
	v_pk_mul_f32 v[192:193], v[22:23], v[192:193]              // 000000007DC8: D3B140C0 18038116
	v_pk_mul_f32 v[194:195], v[22:23], v[194:195]              // 000000007DD0: D3B140C2 18038516
	v_pk_mul_f32 v[196:197], v[22:23], v[196:197]              // 000000007DD8: D3B140C4 18038916
	v_pk_mul_f32 v[198:199], v[22:23], v[198:199]              // 000000007DE0: D3B140C6 18038D16
	v_pk_mul_f32 v[200:201], v[22:23], v[200:201]              // 000000007DE8: D3B140C8 18039116
	v_pk_mul_f32 v[202:203], v[22:23], v[202:203]              // 000000007DF0: D3B140CA 18039516
	v_pk_mul_f32 v[204:205], v[22:23], v[204:205]              // 000000007DF8: D3B140CC 18039916
	v_pk_mul_f32 v[206:207], v[22:23], v[206:207]              // 000000007E00: D3B140CE 18039D16
	v_pk_mul_f32 v[208:209], v[22:23], v[208:209]              // 000000007E08: D3B140D0 1803A116
	v_pk_mul_f32 v[210:211], v[22:23], v[210:211]              // 000000007E10: D3B140D2 1803A516
	v_pk_mul_f32 v[212:213], v[22:23], v[212:213]              // 000000007E18: D3B140D4 1803A916
	v_pk_mul_f32 v[214:215], v[22:23], v[214:215]              // 000000007E20: D3B140D6 1803AD16
	v_pk_mul_f32 v[216:217], v[22:23], v[216:217]              // 000000007E28: D3B140D8 1803B116
	v_pk_mul_f32 v[218:219], v[22:23], v[218:219]              // 000000007E30: D3B140DA 1803B516
	v_pk_mul_f32 v[220:221], v[22:23], v[220:221]              // 000000007E38: D3B140DC 1803B916
	v_pk_mul_f32 v[222:223], v[22:23], v[222:223]              // 000000007E40: D3B140DE 1803BD16
	v_pk_mul_f32 v[224:225], v[22:23], v[224:225]              // 000000007E48: D3B140E0 1803C116
	v_pk_mul_f32 v[226:227], v[22:23], v[226:227]              // 000000007E50: D3B140E2 1803C516
	v_pk_mul_f32 v[228:229], v[22:23], v[228:229]              // 000000007E58: D3B140E4 1803C916
	v_pk_mul_f32 v[230:231], v[22:23], v[230:231]              // 000000007E60: D3B140E6 1803CD16
	v_pk_mul_f32 v[232:233], v[22:23], v[232:233]              // 000000007E68: D3B140E8 1803D116
	v_pk_mul_f32 v[234:235], v[22:23], v[234:235]              // 000000007E70: D3B140EA 1803D516
	v_pk_mul_f32 v[236:237], v[22:23], v[236:237]              // 000000007E78: D3B140EC 1803D916
	v_pk_mul_f32 v[238:239], v[22:23], v[238:239]              // 000000007E80: D3B140EE 1803DD16
	v_pk_mul_f32 v[240:241], v[22:23], v[240:241]              // 000000007E88: D3B140F0 1803E116
	v_pk_mul_f32 v[242:243], v[22:23], v[242:243]              // 000000007E90: D3B140F2 1803E516
	v_pk_mul_f32 v[244:245], v[22:23], v[244:245]              // 000000007E98: D3B140F4 1803E916
	v_pk_mul_f32 v[246:247], v[22:23], v[246:247]              // 000000007EA0: D3B140F6 1803ED16
	v_pk_mul_f32 v[248:249], v[22:23], v[248:249]              // 000000007EA8: D3B140F8 1803F116
	v_pk_mul_f32 v[250:251], v[22:23], v[250:251]              // 000000007EB0: D3B140FA 1803F516
	v_pk_mul_f32 v[252:253], v[22:23], v[252:253]              // 000000007EB8: D3B140FC 1803F916
	v_pk_mul_f32 v[254:255], v[22:23], v[254:255]              // 000000007EC0: D3B140FE 1803FD16
	v_accvgpr_read_b32 v20, a172                               // 000000007EC8: D3D84014 180001AC
	v_accvgpr_read_b32 v21, a173                               // 000000007ED0: D3D84015 180001AD
	v_pk_mul_f32 v[20:21], v[22:23], v[20:21]                  // 000000007ED8: D3B14014 18022916
	v_accvgpr_write_b32 a172, v20                              // 000000007EE0: D3D940AC 18000114
	v_accvgpr_write_b32 a173, v21                              // 000000007EE8: D3D940AD 18000115
	v_accvgpr_read_b32 v20, a174                               // 000000007EF0: D3D84014 180001AE
	v_accvgpr_read_b32 v21, a175                               // 000000007EF8: D3D84015 180001AF
	v_pk_mul_f32 v[20:21], v[22:23], v[20:21]                  // 000000007F00: D3B14014 18022916
	v_accvgpr_write_b32 a174, v20                              // 000000007F08: D3D940AE 18000114
	v_accvgpr_write_b32 a175, v21                              // 000000007F10: D3D940AF 18000115
	v_accvgpr_read_b32 v20, a176                               // 000000007F18: D3D84014 180001B0
	v_accvgpr_read_b32 v21, a177                               // 000000007F20: D3D84015 180001B1
	v_pk_mul_f32 v[20:21], v[22:23], v[20:21]                  // 000000007F28: D3B14014 18022916
	v_accvgpr_write_b32 a176, v20                              // 000000007F30: D3D940B0 18000114
	v_accvgpr_write_b32 a177, v21                              // 000000007F38: D3D940B1 18000115
	v_accvgpr_read_b32 v20, a178                               // 000000007F40: D3D84014 180001B2
	v_accvgpr_read_b32 v21, a179                               // 000000007F48: D3D84015 180001B3
	v_pk_mul_f32 v[20:21], v[22:23], v[20:21]                  // 000000007F50: D3B14014 18022916
	v_accvgpr_write_b32 a178, v20                              // 000000007F58: D3D940B2 18000114
	v_accvgpr_write_b32 a179, v21                              // 000000007F60: D3D940B3 18000115
	v_accvgpr_read_b32 v20, a180                               // 000000007F68: D3D84014 180001B4
	v_accvgpr_read_b32 v21, a181                               // 000000007F70: D3D84015 180001B5
	v_pk_mul_f32 v[20:21], v[22:23], v[20:21]                  // 000000007F78: D3B14014 18022916
	v_accvgpr_write_b32 a180, v20                              // 000000007F80: D3D940B4 18000114
	v_accvgpr_write_b32 a181, v21                              // 000000007F88: D3D940B5 18000115
	v_accvgpr_read_b32 v20, a182                               // 000000007F90: D3D84014 180001B6
	v_accvgpr_read_b32 v21, a183                               // 000000007F98: D3D84015 180001B7
	v_pk_mul_f32 v[20:21], v[22:23], v[20:21]                  // 000000007FA0: D3B14014 18022916
	v_accvgpr_write_b32 a182, v20                              // 000000007FA8: D3D940B6 18000114
	v_accvgpr_write_b32 a183, v21                              // 000000007FB0: D3D940B7 18000115
	v_accvgpr_read_b32 v20, a184                               // 000000007FB8: D3D84014 180001B8
	v_accvgpr_read_b32 v21, a185                               // 000000007FC0: D3D84015 180001B9
	v_pk_mul_f32 v[20:21], v[22:23], v[20:21]                  // 000000007FC8: D3B14014 18022916
	v_accvgpr_write_b32 a184, v20                              // 000000007FD0: D3D940B8 18000114
	v_accvgpr_write_b32 a185, v21                              // 000000007FD8: D3D940B9 18000115
	v_accvgpr_read_b32 v20, a186                               // 000000007FE0: D3D84014 180001BA
	v_accvgpr_read_b32 v21, a187                               // 000000007FE8: D3D84015 180001BB
	v_pk_mul_f32 v[20:21], v[22:23], v[20:21]                  // 000000007FF0: D3B14014 18022916
	v_accvgpr_write_b32 a186, v20                              // 000000007FF8: D3D940BA 18000114
	v_accvgpr_write_b32 a187, v21                              // 000000008000: D3D940BB 18000115
	v_accvgpr_read_b32 v20, a188                               // 000000008008: D3D84014 180001BC
	v_accvgpr_read_b32 v21, a189                               // 000000008010: D3D84015 180001BD
	v_pk_mul_f32 v[20:21], v[22:23], v[20:21]                  // 000000008018: D3B14014 18022916
	v_accvgpr_write_b32 a188, v20                              // 000000008020: D3D940BC 18000114
	v_accvgpr_write_b32 a189, v21                              // 000000008028: D3D940BD 18000115
	v_accvgpr_read_b32 v20, a190                               // 000000008030: D3D84014 180001BE
	v_accvgpr_read_b32 v21, a191                               // 000000008038: D3D84015 180001BF
	v_pk_mul_f32 v[20:21], v[22:23], v[20:21]                  // 000000008040: D3B14014 18022916
	v_accvgpr_write_b32 a190, v20                              // 000000008048: D3D940BE 18000114
	v_accvgpr_write_b32 a191, v21                              // 000000008050: D3D940BF 18000115
	v_accvgpr_read_b32 v20, a192                               // 000000008058: D3D84014 180001C0
	v_accvgpr_read_b32 v21, a193                               // 000000008060: D3D84015 180001C1
	v_pk_mul_f32 v[20:21], v[22:23], v[20:21]                  // 000000008068: D3B14014 18022916
	v_accvgpr_write_b32 a192, v20                              // 000000008070: D3D940C0 18000114
	v_accvgpr_write_b32 a193, v21                              // 000000008078: D3D940C1 18000115
	v_accvgpr_read_b32 v20, a194                               // 000000008080: D3D84014 180001C2
	v_accvgpr_read_b32 v21, a195                               // 000000008088: D3D84015 180001C3
	v_pk_mul_f32 v[20:21], v[22:23], v[20:21]                  // 000000008090: D3B14014 18022916
	v_accvgpr_write_b32 a194, v20                              // 000000008098: D3D940C2 18000114
	v_accvgpr_write_b32 a195, v21                              // 0000000080A0: D3D940C3 18000115
	v_accvgpr_read_b32 v20, a196                               // 0000000080A8: D3D84014 180001C4
	v_accvgpr_read_b32 v21, a197                               // 0000000080B0: D3D84015 180001C5
	v_pk_mul_f32 v[20:21], v[22:23], v[20:21]                  // 0000000080B8: D3B14014 18022916
	v_accvgpr_write_b32 a196, v20                              // 0000000080C0: D3D940C4 18000114
	v_accvgpr_write_b32 a197, v21                              // 0000000080C8: D3D940C5 18000115
	v_accvgpr_read_b32 v20, a198                               // 0000000080D0: D3D84014 180001C6
	v_accvgpr_read_b32 v21, a199                               // 0000000080D8: D3D84015 180001C7
	v_pk_mul_f32 v[20:21], v[22:23], v[20:21]                  // 0000000080E0: D3B14014 18022916
	v_accvgpr_write_b32 a198, v20                              // 0000000080E8: D3D940C6 18000114
	v_accvgpr_write_b32 a199, v21                              // 0000000080F0: D3D940C7 18000115
	s_waitcnt vmcnt(18) lgkmcnt(0)                             // 0000000080F8: BF8C4072
	s_barrier                                                  // 0000000080FC: BF8A0000
	v_mfma_f32_16x16x32_fp8_fp8 v[156:159], a[72:73], v[42:43], v[156:159]// 000000008100: D3F3009C 0E725548
	ds_read_b32 v20, v5                                        // 000000008108: D86C0000 14000005
	ds_read_b32 v21, v5 offset:4640                            // 000000008110: D86C1220 15000005
	ds_read_b32 v22, v5 offset:9280                            // 000000008118: D86C2440 16000005
	ds_read_b32 v23, v5 offset:13920                           // 000000008120: D86C3660 17000005
	v_mfma_f32_16x16x32_fp8_fp8 v[160:163], a[74:75], v[42:43], v[160:163]// 000000008128: D3F300A0 0E82554A
	v_mfma_f32_16x16x32_fp8_fp8 v[164:167], a[76:77], v[42:43], v[164:167]// 000000008130: D3F300A4 0E92554C
	ds_read_b32 v24, v5 offset:128                             // 000000008138: D86C0080 18000005
	ds_read_b32 v25, v5 offset:4768                            // 000000008140: D86C12A0 19000005
	ds_read_b32 v26, v5 offset:9408                            // 000000008148: D86C24C0 1A000005
	ds_read_b32 v27, v5 offset:14048                           // 000000008150: D86C36E0 1B000005
	v_mfma_f32_16x16x32_fp8_fp8 v[168:171], a[78:79], v[42:43], v[168:171]// 000000008158: D3F300A8 0EA2554E
	v_mfma_f32_16x16x32_fp8_fp8 v[172:175], a[80:81], v[42:43], v[172:175]// 000000008160: D3F300AC 0EB25550
	ds_read_b128 a[72:75], v4                                  // 000000008168: DBFE0000 48000004
	ds_read_b128 a[76:79], v4 offset:256                       // 000000008170: DBFE0100 4C000004
	v_mfma_f32_16x16x32_fp8_fp8 v[176:179], a[82:83], v[42:43], v[176:179]// 000000008178: D3F300B0 0EC25552
	v_mfma_f32_16x16x32_fp8_fp8 v[180:183], a[84:85], v[42:43], v[180:183]// 000000008180: D3F300B4 0ED25554
	s_waitcnt lgkmcnt(2)                                       // 000000008188: BF8CC27F
	v_perm_b32 v32, v22, v20, s52                              // 00000000818C: D1ED0020 00D22916
	v_perm_b32 v33, v22, v20, s53                              // 000000008194: D1ED0021 00D62916
	v_perm_b32 v34, v23, v21, s52                              // 00000000819C: D1ED0022 00D22B17
	v_perm_b32 v35, v23, v21, s53                              // 0000000081A4: D1ED0023 00D62B17
	v_perm_b32 v28, v34, v32, s54                              // 0000000081AC: D1ED001C 00DA4122
	v_perm_b32 v36, v34, v32, s55                              // 0000000081B4: D1ED0024 00DE4122
	v_perm_b32 v30, v35, v33, s54                              // 0000000081BC: D1ED001E 00DA4323
	v_perm_b32 v38, v35, v33, s55                              // 0000000081C4: D1ED0026 00DE4323
	v_mfma_f32_16x16x32_fp8_fp8 v[184:187], a[86:87], v[42:43], v[184:187]// 0000000081CC: D3F300B8 0EE25556
	v_mfma_f32_16x16x32_fp8_fp8 v[188:191], a[88:89], v[42:43], v[188:191]// 0000000081D4: D3F300BC 0EF25558
	v_perm_b32 v32, v26, v24, s52                              // 0000000081DC: D1ED0020 00D2311A
	v_perm_b32 v33, v26, v24, s53                              // 0000000081E4: D1ED0021 00D6311A
	v_perm_b32 v34, v27, v25, s52                              // 0000000081EC: D1ED0022 00D2331B
	v_perm_b32 v35, v27, v25, s53                              // 0000000081F4: D1ED0023 00D6331B
	v_perm_b32 v29, v34, v32, s54                              // 0000000081FC: D1ED001D 00DA4122
	v_perm_b32 v37, v34, v32, s55                              // 000000008204: D1ED0025 00DE4122
	v_perm_b32 v31, v35, v33, s54                              // 00000000820C: D1ED001F 00DA4323
	v_perm_b32 v39, v35, v33, s55                              // 000000008214: D1ED0027 00DE4323
	v_mfma_f32_16x16x32_fp8_fp8 v[192:195], a[90:91], v[42:43], v[192:195]// 00000000821C: D3F300C0 0F02555A
	v_mfma_f32_16x16x32_fp8_fp8 v[196:199], a[92:93], v[42:43], v[196:199]// 000000008224: D3F300C4 0F12555C
	ds_write_b128 v6, v[28:31] offset:37120                    // 00000000822C: D9BE9100 00001C06
	v_mfma_f32_16x16x32_fp8_fp8 v[200:203], a[94:95], v[42:43], v[200:203]// 000000008234: D3F300C8 0F22555E
	v_mfma_f32_16x16x32_fp8_fp8 v[204:207], a[96:97], v[42:43], v[204:207]// 00000000823C: D3F300CC 0F325560
	ds_write_b128 v6, v[36:39] offset:38144                    // 000000008244: D9BE9500 00002406
	v_mfma_f32_16x16x32_fp8_fp8 v[208:211], a[98:99], v[42:43], v[208:211]// 00000000824C: D3F300D0 0F425562
	v_mfma_f32_16x16x32_fp8_fp8 v[212:215], a[100:101], v[42:43], v[212:215]// 000000008254: D3F300D4 0F525564
	v_mfma_f32_16x16x32_fp8_fp8 v[216:219], a[102:103], v[42:43], v[216:219]// 00000000825C: D3F300D8 0F625566
	v_mfma_f32_16x16x32_fp8_fp8 v[220:223], a[104:105], v[42:43], v[220:223]// 000000008264: D3F300DC 0F725568
	ds_read_b32 v20, v5 offset:1024                            // 00000000826C: D86C0400 14000005
	ds_read_b32 v21, v5 offset:5664                            // 000000008274: D86C1620 15000005
	ds_read_b32 v22, v5 offset:10304                           // 00000000827C: D86C2840 16000005
	ds_read_b32 v23, v5 offset:14944                           // 000000008284: D86C3A60 17000005
	v_mfma_f32_16x16x32_fp8_fp8 v[224:227], a[106:107], v[42:43], v[224:227]// 00000000828C: D3F300E0 0F82556A
	v_mfma_f32_16x16x32_fp8_fp8 v[228:231], a[108:109], v[42:43], v[228:231]// 000000008294: D3F300E4 0F92556C
	ds_read_b32 v24, v5 offset:1152                            // 00000000829C: D86C0480 18000005
	ds_read_b32 v25, v5 offset:5792                            // 0000000082A4: D86C16A0 19000005
	ds_read_b32 v26, v5 offset:10432                           // 0000000082AC: D86C28C0 1A000005
	ds_read_b32 v27, v5 offset:15072                           // 0000000082B4: D86C3AE0 1B000005
	v_mfma_f32_16x16x32_fp8_fp8 v[232:235], a[110:111], v[42:43], v[232:235]// 0000000082BC: D3F300E8 0FA2556E
	v_mfma_f32_16x16x32_fp8_fp8 v[236:239], a[112:113], v[42:43], v[236:239]// 0000000082C4: D3F300EC 0FB25570
	ds_read_b128 a[80:83], v4 offset:512                       // 0000000082CC: DBFE0200 50000004
	ds_read_b128 a[84:87], v4 offset:768                       // 0000000082D4: DBFE0300 54000004
	v_mfma_f32_16x16x32_fp8_fp8 v[240:243], a[114:115], v[42:43], v[240:243]// 0000000082DC: D3F300F0 0FC25572
	v_mfma_f32_16x16x32_fp8_fp8 v[244:247], a[116:117], v[42:43], v[244:247]// 0000000082E4: D3F300F4 0FD25574
	v_mfma_f32_16x16x32_fp8_fp8 v[248:251], a[118:119], v[42:43], v[248:251]// 0000000082EC: D3F300F8 0FE25576
	v_mfma_f32_16x16x32_fp8_fp8 v[252:255], a[120:121], v[42:43], v[252:255]// 0000000082F4: D3F300FC 0FF25578
	ds_read_b128 a[88:91], v4 offset:1024                      // 0000000082FC: DBFE0400 58000004
	ds_read_b128 a[92:95], v4 offset:1280                      // 000000008304: DBFE0500 5C000004
	v_mfma_f32_16x16x32_fp8_fp8 a[172:175], a[122:123], v[42:43], a[172:175]// 00000000830C: D3F380AC 0EB2557A
	v_mfma_f32_16x16x32_fp8_fp8 a[176:179], a[124:125], v[42:43], a[176:179]// 000000008314: D3F380B0 0EC2557C
	v_mfma_f32_16x16x32_fp8_fp8 a[180:183], a[126:127], v[42:43], a[180:183]// 00000000831C: D3F380B4 0ED2557E
	v_mfma_f32_16x16x32_fp8_fp8 a[184:187], a[128:129], v[42:43], a[184:187]// 000000008324: D3F380B8 0EE25580
	ds_read_b128 a[96:99], v4 offset:1536                      // 00000000832C: DBFE0600 60000004
	ds_read_b128 a[100:103], v4 offset:1792                    // 000000008334: DBFE0700 64000004
	v_mfma_f32_16x16x32_fp8_fp8 a[188:191], a[130:131], v[42:43], a[188:191]// 00000000833C: D3F380BC 0EF25582
	v_mfma_f32_16x16x32_fp8_fp8 a[192:195], a[132:133], v[42:43], a[192:195]// 000000008344: D3F380C0 0F025584
	v_mfma_f32_16x16x32_fp8_fp8 a[196:199], a[134:135], v[42:43], a[196:199]// 00000000834C: D3F380C4 0F125586
	s_nop 0                                                    // 000000008354: BF800000
	s_addk_i32 s70, 0x1                                        // 000000008358: B7460001
	s_cmp_lt_i32 s70, s71                                      // 00000000835C: BF044746
	s_cbranch_scc0 label_0ED6                                  // 000000008360: BF84F6BD
	s_branch label_0ED9                                        // 000000008364: BF82F6BF

0000000000008368 <label_181A>:
	s_cmp_eq_i32 s48, 0                                        // 000000008368: BF008030
	s_cbranch_scc1 label_20F7                                  // 00000000836C: BF8508DB

0000000000008370 <label_181C>:
	s_and_b32 s56, s71, 1                                      // 000000008370: 86388147
	s_cmp_eq_i32 s56, 1                                        // 000000008374: BF008138
	s_cbranch_scc1 label_1C8B                                  // 000000008378: BF85046C
	s_waitcnt lgkmcnt(4)                                       // 00000000837C: BF8CC47F
	v_mfma_f32_16x16x32_fp8_fp8 v[40:43], a[72:73], a[0:1], 0  // 000000008380: D3F30028 1A020148
	ds_read_b128 a[104:107], v4 offset:2048                    // 000000008388: DBFE0800 68000004
	ds_read_b128 a[108:111], v4 offset:128                     // 000000008390: DBFE0080 6C000004
	v_mfma_f32_16x16x32_fp8_fp8 v[40:43], a[74:75], a[2:3], v[40:43]// 000000008398: D3F30028 1CA2054A
	v_mfma_f32_16x16x32_fp8_fp8 v[40:43], a[76:77], a[4:5], v[40:43]// 0000000083A0: D3F30028 1CA2094C
	v_mfma_f32_16x16x32_fp8_fp8 v[40:43], a[78:79], a[6:7], v[40:43]// 0000000083A8: D3F30028 1CA20D4E
	v_mfma_f32_16x16x32_fp8_fp8 v[40:43], a[80:81], a[8:9], v[40:43]// 0000000083B0: D3F30028 1CA21150
	ds_read_b128 a[112:115], v4 offset:384                     // 0000000083B8: DBFE0180 70000004
	ds_read_b128 a[116:119], v4 offset:640                     // 0000000083C0: DBFE0280 74000004
	v_mfma_f32_16x16x32_fp8_fp8 v[40:43], a[82:83], a[10:11], v[40:43]// 0000000083C8: D3F30028 1CA21552
	v_mfma_f32_16x16x32_fp8_fp8 v[40:43], a[84:85], a[12:13], v[40:43]// 0000000083D0: D3F30028 1CA21954
	v_mfma_f32_16x16x32_fp8_fp8 v[40:43], a[86:87], a[14:15], v[40:43]// 0000000083D8: D3F30028 1CA21D56
	s_waitcnt lgkmcnt(4)                                       // 0000000083E0: BF8CC47F
	v_mfma_f32_16x16x32_fp8_fp8 v[40:43], a[88:89], a[16:17], v[40:43]// 0000000083E4: D3F30028 1CA22158
	ds_read_b128 a[120:123], v4 offset:896                     // 0000000083EC: DBFE0380 78000004
	ds_read_b128 a[124:127], v4 offset:1152                    // 0000000083F4: DBFE0480 7C000004
	v_mfma_f32_16x16x32_fp8_fp8 v[40:43], a[90:91], a[18:19], v[40:43]// 0000000083FC: D3F30028 1CA2255A
	v_mfma_f32_16x16x32_fp8_fp8 v[40:43], a[92:93], a[20:21], v[40:43]// 000000008404: D3F30028 1CA2295C
	v_mfma_f32_16x16x32_fp8_fp8 v[40:43], a[94:95], a[22:23], v[40:43]// 00000000840C: D3F30028 1CA22D5E
	v_mfma_f32_16x16x32_fp8_fp8 v[40:43], a[96:97], a[24:25], v[40:43]// 000000008414: D3F30028 1CA23160
	ds_read_b128 a[128:131], v4 offset:1408                    // 00000000841C: DBFE0580 80000004
	ds_read_b128 a[132:135], v4 offset:1664                    // 000000008424: DBFE0680 84000004
	v_mfma_f32_16x16x32_fp8_fp8 v[40:43], a[98:99], a[26:27], v[40:43]// 00000000842C: D3F30028 1CA23562
	v_mfma_f32_16x16x32_fp8_fp8 v[40:43], a[100:101], a[28:29], v[40:43]// 000000008434: D3F30028 1CA23964
	v_mfma_f32_16x16x32_fp8_fp8 v[40:43], a[102:103], a[30:31], v[40:43]// 00000000843C: D3F30028 1CA23D66
	s_waitcnt lgkmcnt(4)                                       // 000000008444: BF8CC47F
	s_barrier                                                  // 000000008448: BF8A0000
	v_mfma_f32_16x16x32_fp8_fp8 v[40:43], a[104:105], a[32:33], v[40:43]// 00000000844C: D3F30028 1CA24168
	ds_read_b128 a[136:139], v4 offset:1920                    // 000000008454: DBFE0780 88000004
	ds_read_b128 a[140:143], v4 offset:2176                    // 00000000845C: DBFE0880 8C000004
	v_mfma_f32_16x16x32_fp8_fp8 v[40:43], a[106:107], a[34:35], v[40:43]// 000000008464: D3F30028 1CA2456A
	v_mfma_f32_16x16x32_fp8_fp8 v[44:47], a[108:109], a[0:1], 0// 00000000846C: D3F3002C 1A02016C
	v_perm_b32 v32, v22, v20, s52                              // 000000008474: D1ED0020 00D22916
	v_perm_b32 v33, v22, v20, s53                              // 00000000847C: D1ED0021 00D62916
	v_perm_b32 v34, v23, v21, s52                              // 000000008484: D1ED0022 00D22B17
	v_perm_b32 v35, v23, v21, s53                              // 00000000848C: D1ED0023 00D62B17
	v_perm_b32 v28, v34, v32, s54                              // 000000008494: D1ED001C 00DA4122
	v_perm_b32 v36, v34, v32, s55                              // 00000000849C: D1ED0024 00DE4122
	v_perm_b32 v30, v35, v33, s54                              // 0000000084A4: D1ED001E 00DA4323
	v_perm_b32 v38, v35, v33, s55                              // 0000000084AC: D1ED0026 00DE4323
	v_mfma_f32_16x16x32_fp8_fp8 v[44:47], a[110:111], a[2:3], v[44:47]// 0000000084B4: D3F3002C 1CB2056E
	v_mfma_f32_16x16x32_fp8_fp8 v[44:47], a[112:113], a[4:5], v[44:47]// 0000000084BC: D3F3002C 1CB20970
	v_perm_b32 v32, v26, v24, s52                              // 0000000084C4: D1ED0020 00D2311A
	v_perm_b32 v33, v26, v24, s53                              // 0000000084CC: D1ED0021 00D6311A
	v_perm_b32 v34, v27, v25, s52                              // 0000000084D4: D1ED0022 00D2331B
	v_perm_b32 v35, v27, v25, s53                              // 0000000084DC: D1ED0023 00D6331B
	v_perm_b32 v29, v34, v32, s54                              // 0000000084E4: D1ED001D 00DA4122
	v_perm_b32 v37, v34, v32, s55                              // 0000000084EC: D1ED0025 00DE4122
	v_perm_b32 v31, v35, v33, s54                              // 0000000084F4: D1ED001F 00DA4323
	v_perm_b32 v39, v35, v33, s55                              // 0000000084FC: D1ED0027 00DE4323
	v_mfma_f32_16x16x32_fp8_fp8 v[44:47], a[114:115], a[6:7], v[44:47]// 000000008504: D3F3002C 1CB20D72
	v_mfma_f32_16x16x32_fp8_fp8 v[44:47], a[116:117], a[8:9], v[44:47]// 00000000850C: D3F3002C 1CB21174
	ds_write_b128 v6, v[28:31] offset:45312                    // 000000008514: D9BEB100 00001C06
	v_mfma_f32_16x16x32_fp8_fp8 v[44:47], a[118:119], a[10:11], v[44:47]// 00000000851C: D3F3002C 1CB21576
	s_waitcnt lgkmcnt(1)                                       // 000000008524: BF8CC17F
	v_mfma_f32_16x16x32_fp8_fp8 v[44:47], a[120:121], a[12:13], v[44:47]// 000000008528: D3F3002C 1CB21978
	ds_write_b128 v6, v[36:39] offset:46336                    // 000000008530: D9BEB500 00002406
	v_mfma_f32_16x16x32_fp8_fp8 v[44:47], a[122:123], a[14:15], v[44:47]// 000000008538: D3F3002C 1CB21D7A
	v_mfma_f32_16x16x32_fp8_fp8 v[44:47], a[124:125], a[16:17], v[44:47]// 000000008540: D3F3002C 1CB2217C
	v_mfma_f32_16x16x32_fp8_fp8 v[44:47], a[126:127], a[18:19], v[44:47]// 000000008548: D3F3002C 1CB2257E
	v_mfma_f32_16x16x32_fp8_fp8 v[44:47], a[128:129], a[20:21], v[44:47]// 000000008550: D3F3002C 1CB22980
	v_mfma_f32_16x16x32_fp8_fp8 v[44:47], a[130:131], a[22:23], v[44:47]// 000000008558: D3F3002C 1CB22D82
	v_mfma_f32_16x16x32_fp8_fp8 v[44:47], a[132:133], a[24:25], v[44:47]// 000000008560: D3F3002C 1CB23184
	v_mfma_f32_16x16x32_fp8_fp8 v[44:47], a[134:135], a[26:27], v[44:47]// 000000008568: D3F3002C 1CB23586
	v_mfma_f32_16x16x32_fp8_fp8 v[44:47], a[136:137], a[28:29], v[44:47]// 000000008570: D3F3002C 1CB23988
	v_mfma_f32_16x16x32_fp8_fp8 v[44:47], a[138:139], a[30:31], v[44:47]// 000000008578: D3F3002C 1CB23D8A
	v_mfma_f32_16x16x32_fp8_fp8 v[44:47], a[140:141], a[32:33], v[44:47]// 000000008580: D3F3002C 1CB2418C
	v_mfma_f32_16x16x32_fp8_fp8 v[44:47], a[142:143], a[34:35], v[44:47]// 000000008588: D3F3002C 1CB2458E
	s_waitcnt lgkmcnt(0)                                       // 000000008590: BF8CC07F
	s_barrier                                                  // 000000008594: BF8A0000
	v_mov_b32_e32 v25, 0xff800000                              // 000000008598: 7E3202FF FF800000
	s_and_b32 s56, s48, 0xff                                   // 0000000085A0: 8638FF30 000000FF
	v_mov_b32_e32 v24, s56                                     // 0000000085A8: 7E300238
	v_lshrrev_b32_e32 v20, 4, v0                               // 0000000085AC: 20280084
	v_mul_i32_i24_e32 v20, 4, v20                              // 0000000085B0: 0C282884
	v_add_u32_e32 v21, 1, v20                                  // 0000000085B4: 682A2881
	v_add_u32_e32 v22, 2, v20                                  // 0000000085B8: 682C2882
	v_add_u32_e32 v23, 3, v20                                  // 0000000085BC: 682E2883
	v_cmp_lt_u32_e64 s[38:39], v20, v24                        // 0000000085C0: D0C90026 00023114
	v_add_u32_e32 v20, 16, v20                                 // 0000000085C8: 68282890
	s_nop 0                                                    // 0000000085CC: BF800000
	v_cndmask_b32_e64 v40, v25, v40, s[38:39]                  // 0000000085D0: D1000028 009A5119
	v_cmp_lt_u32_e64 s[38:39], v21, v24                        // 0000000085D8: D0C90026 00023115
	v_add_u32_e32 v21, 16, v21                                 // 0000000085E0: 682A2A90
	s_nop 0                                                    // 0000000085E4: BF800000
	v_cndmask_b32_e64 v41, v25, v41, s[38:39]                  // 0000000085E8: D1000029 009A5319
	v_cmp_lt_u32_e64 s[38:39], v22, v24                        // 0000000085F0: D0C90026 00023116
	v_add_u32_e32 v22, 16, v22                                 // 0000000085F8: 682C2C90
	s_nop 0                                                    // 0000000085FC: BF800000
	v_cndmask_b32_e64 v42, v25, v42, s[38:39]                  // 000000008600: D100002A 009A5519
	v_cmp_lt_u32_e64 s[38:39], v23, v24                        // 000000008608: D0C90026 00023117
	v_add_u32_e32 v23, 16, v23                                 // 000000008610: 682E2E90
	s_nop 0                                                    // 000000008614: BF800000
	v_cndmask_b32_e64 v43, v25, v43, s[38:39]                  // 000000008618: D100002B 009A5719
	v_cmp_lt_u32_e64 s[38:39], v20, v24                        // 000000008620: D0C90026 00023114
	v_add_u32_e32 v20, 16, v20                                 // 000000008628: 68282890
	s_nop 0                                                    // 00000000862C: BF800000
	v_cndmask_b32_e64 v44, v25, v44, s[38:39]                  // 000000008630: D100002C 009A5919
	v_cmp_lt_u32_e64 s[38:39], v21, v24                        // 000000008638: D0C90026 00023115
	v_add_u32_e32 v21, 16, v21                                 // 000000008640: 682A2A90
	s_nop 0                                                    // 000000008644: BF800000
	v_cndmask_b32_e64 v45, v25, v45, s[38:39]                  // 000000008648: D100002D 009A5B19
	v_cmp_lt_u32_e64 s[38:39], v22, v24                        // 000000008650: D0C90026 00023116
	v_add_u32_e32 v22, 16, v22                                 // 000000008658: 682C2C90
	s_nop 0                                                    // 00000000865C: BF800000
	v_cndmask_b32_e64 v46, v25, v46, s[38:39]                  // 000000008660: D100002E 009A5D19
	v_cmp_lt_u32_e64 s[38:39], v23, v24                        // 000000008668: D0C90026 00023117
	v_add_u32_e32 v23, 16, v23                                 // 000000008670: 682E2E90
	s_nop 0                                                    // 000000008674: BF800000
	v_cndmask_b32_e64 v47, v25, v47, s[38:39]                  // 000000008678: D100002F 009A5F19
	v_mfma_f32_16x16x32_fp8_fp8 v[48:51], a[72:73], a[36:37], 0// 000000008680: D3F30030 1A024948
	v_mfma_f32_16x16x32_fp8_fp8 v[48:51], a[74:75], a[38:39], v[48:51]// 000000008688: D3F30030 1CC24D4A
	v_max3_f32 v24, v40, v41, v40                              // 000000008690: D1D30018 04A25328
	v_max3_f32 v24, v42, v43, v24                              // 000000008698: D1D30018 0462572A
	v_max3_f32 v24, v44, v45, v24                              // 0000000086A0: D1D30018 04625B2C
	v_max3_f32 v24, v46, v47, v24                              // 0000000086A8: D1D30018 04625F2E
	ds_write_b32 v3, v24 offset:53504                          // 0000000086B0: D81AD100 00001803
	v_mfma_f32_16x16x32_fp8_fp8 v[48:51], a[76:77], a[40:41], v[48:51]// 0000000086B8: D3F30030 1CC2514C
	v_mfma_f32_16x16x32_fp8_fp8 v[48:51], a[78:79], a[42:43], v[48:51]// 0000000086C0: D3F30030 1CC2554E
	v_mfma_f32_16x16x32_fp8_fp8 v[48:51], a[80:81], a[44:45], v[48:51]// 0000000086C8: D3F30030 1CC25950
	v_mfma_f32_16x16x32_fp8_fp8 v[48:51], a[82:83], a[46:47], v[48:51]// 0000000086D0: D3F30030 1CC25D52
	v_mfma_f32_16x16x32_fp8_fp8 v[48:51], a[84:85], a[48:49], v[48:51]// 0000000086D8: D3F30030 1CC26154
	s_waitcnt lgkmcnt(0)                                       // 0000000086E0: BF8CC07F
	ds_read_b32 v20, v2 offset:53504                           // 0000000086E4: D86CD100 14000002
	ds_read_b32 v21, v2 offset:53568                           // 0000000086EC: D86CD140 15000002
	v_mfma_f32_16x16x32_fp8_fp8 v[48:51], a[86:87], a[50:51], v[48:51]// 0000000086F4: D3F30030 1CC26556
	ds_read_b32 v22, v2 offset:53632                           // 0000000086FC: D86CD180 16000002
	ds_read_b32 v23, v2 offset:53696                           // 000000008704: D86CD1C0 17000002
	v_mfma_f32_16x16x32_fp8_fp8 v[48:51], a[88:89], a[52:53], v[48:51]// 00000000870C: D3F30030 1CC26958
	v_mfma_f32_16x16x32_fp8_fp8 v[48:51], a[90:91], a[54:55], v[48:51]// 000000008714: D3F30030 1CC26D5A
	v_mfma_f32_16x16x32_fp8_fp8 v[48:51], a[92:93], a[56:57], v[48:51]// 00000000871C: D3F30030 1CC2715C
	v_mfma_f32_16x16x32_fp8_fp8 v[48:51], a[94:95], a[58:59], v[48:51]// 000000008724: D3F30030 1CC2755E
	v_mfma_f32_16x16x32_fp8_fp8 v[48:51], a[96:97], a[60:61], v[48:51]// 00000000872C: D3F30030 1CC27960
	v_mfma_f32_16x16x32_fp8_fp8 v[48:51], a[98:99], a[62:63], v[48:51]// 000000008734: D3F30030 1CC27D62
	v_mfma_f32_16x16x32_fp8_fp8 v[48:51], a[100:101], a[64:65], v[48:51]// 00000000873C: D3F30030 1CC28164
	s_waitcnt lgkmcnt(0)                                       // 000000008744: BF8CC07F
	v_max3_f32 v24, v20, v21, v24                              // 000000008748: D1D30018 04622B14
	v_max3_f32 v24, v22, v23, v24                              // 000000008750: D1D30018 04622F16
	v_mfma_f32_16x16x32_fp8_fp8 v[48:51], a[102:103], a[66:67], v[48:51]// 000000008758: D3F30030 1CC28566
	v_mfma_f32_16x16x32_fp8_fp8 v[48:51], a[104:105], a[68:69], v[48:51]// 000000008760: D3F30030 1CC28968
	v_mfma_f32_16x16x32_fp8_fp8 v[48:51], a[106:107], a[70:71], v[48:51]// 000000008768: D3F30030 1CC28D6A
	v_mfma_f32_16x16x32_fp8_fp8 v[52:55], a[108:109], a[36:37], 0// 000000008770: D3F30034 1A02496C
	v_mfma_f32_16x16x32_fp8_fp8 v[52:55], a[110:111], a[38:39], v[52:55]// 000000008778: D3F30034 1CD24D6E
	v_mfma_f32_16x16x32_fp8_fp8 v[52:55], a[112:113], a[40:41], v[52:55]// 000000008780: D3F30034 1CD25170
	ds_read_b128 a[72:75], v7 offset:37120                     // 000000008788: DBFE9100 48000007
	ds_read_b128 a[76:79], v7 offset:38144                     // 000000008790: DBFE9500 4C000007
	v_mfma_f32_16x16x32_fp8_fp8 v[52:55], a[114:115], a[42:43], v[52:55]// 000000008798: D3F30034 1CD25572
	v_mfma_f32_16x16x32_fp8_fp8 v[52:55], a[116:117], a[44:45], v[52:55]// 0000000087A0: D3F30034 1CD25974
	v_mfma_f32_16x16x32_fp8_fp8 v[52:55], a[118:119], a[46:47], v[52:55]// 0000000087A8: D3F30034 1CD25D76
	v_mfma_f32_16x16x32_fp8_fp8 v[52:55], a[120:121], a[48:49], v[52:55]// 0000000087B0: D3F30034 1CD26178
	ds_read_b128 a[80:83], v7 offset:39168                     // 0000000087B8: DBFE9900 50000007
	ds_read_b128 a[84:87], v7 offset:40192                     // 0000000087C0: DBFE9D00 54000007
	v_mfma_f32_16x16x32_fp8_fp8 v[52:55], a[122:123], a[50:51], v[52:55]// 0000000087C8: D3F30034 1CD2657A
	v_mfma_f32_16x16x32_fp8_fp8 v[52:55], a[124:125], a[52:53], v[52:55]// 0000000087D0: D3F30034 1CD2697C
	v_mfma_f32_16x16x32_fp8_fp8 v[52:55], a[126:127], a[54:55], v[52:55]// 0000000087D8: D3F30034 1CD26D7E
	v_mfma_f32_16x16x32_fp8_fp8 v[52:55], a[128:129], a[56:57], v[52:55]// 0000000087E0: D3F30034 1CD27180
	ds_read_b128 a[88:91], v7 offset:41216                     // 0000000087E8: DBFEA100 58000007
	ds_read_b128 a[92:95], v7 offset:42240                     // 0000000087F0: DBFEA500 5C000007
	v_mfma_f32_16x16x32_fp8_fp8 v[52:55], a[130:131], a[58:59], v[52:55]// 0000000087F8: D3F30034 1CD27582
	v_mfma_f32_16x16x32_fp8_fp8 v[52:55], a[132:133], a[60:61], v[52:55]// 000000008800: D3F30034 1CD27984
	v_mfma_f32_16x16x32_fp8_fp8 v[52:55], a[134:135], a[62:63], v[52:55]// 000000008808: D3F30034 1CD27D86
	v_mfma_f32_16x16x32_fp8_fp8 v[52:55], a[136:137], a[64:65], v[52:55]// 000000008810: D3F30034 1CD28188
	ds_read_b128 a[96:99], v7 offset:43264                     // 000000008818: DBFEA900 60000007
	ds_read_b128 a[100:103], v7 offset:44288                   // 000000008820: DBFEAD00 64000007
	v_mfma_f32_16x16x32_fp8_fp8 v[52:55], a[138:139], a[66:67], v[52:55]// 000000008828: D3F30034 1CD2858A
	v_mfma_f32_16x16x32_fp8_fp8 v[52:55], a[140:141], a[68:69], v[52:55]// 000000008830: D3F30034 1CD2898C
	v_mfma_f32_16x16x32_fp8_fp8 v[52:55], a[142:143], a[70:71], v[52:55]// 000000008838: D3F30034 1CD28D8E
	v_mov_b32_e32 v25, 0xff7fffff                              // 000000008840: 7E3202FF FF7FFFFF
	v_cmp_eq_u32_e64 s[38:39], v25, v12                        // 000000008848: D0CA0026 00021919
	v_max_f32_e32 v20, v24, v12                                // 000000008850: 16281918
	v_sub_f32_e32 v16, v12, v20                                // 000000008854: 0420290C
	v_cndmask_b32_e64 v16, v16, 0, s[38:39]                    // 000000008858: D1000010 00990110
	v_mov_b32_e32 v12, v20                                     // 000000008860: 7E180314
	v_mul_f32_e32 v21, s5, v20                                 // 000000008864: 0A2A2805
	v_mul_f32_e32 v16, s5, v16                                 // 000000008868: 0A202005
	v_exp_f32_e32 v16, v16                                     // 00000000886C: 7E204110
	v_fma_f32 v40, v40, s5, -v21                               // 000000008870: D1CB0028 84540B28
	v_fma_f32 v41, v41, s5, -v21                               // 000000008878: D1CB0029 84540B29
	v_fma_f32 v42, v42, s5, -v21                               // 000000008880: D1CB002A 84540B2A
	v_fma_f32 v43, v43, s5, -v21                               // 000000008888: D1CB002B 84540B2B
	v_fma_f32 v44, v44, s5, -v21                               // 000000008890: D1CB002C 84540B2C
	v_fma_f32 v45, v45, s5, -v21                               // 000000008898: D1CB002D 84540B2D
	v_fma_f32 v46, v46, s5, -v21                               // 0000000088A0: D1CB002E 84540B2E
	v_fma_f32 v47, v47, s5, -v21                               // 0000000088A8: D1CB002F 84540B2F
	v_exp_f32_e32 v40, v40                                     // 0000000088B0: 7E504128
	v_exp_f32_e32 v41, v41                                     // 0000000088B4: 7E524129
	v_exp_f32_e32 v42, v42                                     // 0000000088B8: 7E54412A
	v_exp_f32_e32 v43, v43                                     // 0000000088BC: 7E56412B
	v_exp_f32_e32 v44, v44                                     // 0000000088C0: 7E58412C
	v_exp_f32_e32 v45, v45                                     // 0000000088C4: 7E5A412D
	v_exp_f32_e32 v46, v46                                     // 0000000088C8: 7E5C412E
	v_exp_f32_e32 v47, v47                                     // 0000000088CC: 7E5E412F
	v_mul_f32_e32 v14, v16, v14                                // 0000000088D0: 0A1C1D10
	v_mov_b32_e32 v22, v40                                     // 0000000088D4: 7E2C0328
	v_add_f32_e32 v22, v41, v22                                // 0000000088D8: 022C2D29
	v_add_f32_e32 v22, v42, v22                                // 0000000088DC: 022C2D2A
	v_add_f32_e32 v22, v43, v22                                // 0000000088E0: 022C2D2B
	v_add_f32_e32 v22, v44, v22                                // 0000000088E4: 022C2D2C
	v_add_f32_e32 v22, v45, v22                                // 0000000088E8: 022C2D2D
	v_add_f32_e32 v22, v46, v22                                // 0000000088EC: 022C2D2E
	v_add_f32_e32 v22, v47, v22                                // 0000000088F0: 022C2D2F
	v_add_f32_e32 v14, v22, v14                                // 0000000088F4: 021C1D16
	v_cvt_pk_fp8_f32 v40, v40, v41                             // 0000000088F8: D2A20028 00025328
	v_cvt_pk_fp8_f32 v40, v42, v43 op_sel:[0,0,1]              // 000000008900: D2A24028 0002572A
	v_cvt_pk_fp8_f32 v41, v44, v45                             // 000000008908: D2A20029 00025B2C
	v_cvt_pk_fp8_f32 v41, v46, v47 op_sel:[0,0,1]              // 000000008910: D2A24029 00025F2E
	s_nop 0                                                    // 000000008918: BF800000
	v_mov_b32_e32 v22, v16                                     // 00000000891C: 7E2C0310
	v_mov_b32_e32 v23, v16                                     // 000000008920: 7E2E0310
	v_pk_mul_f32 v[56:57], v[22:23], v[56:57]                  // 000000008924: D3B14038 18027116
	v_pk_mul_f32 v[58:59], v[22:23], v[58:59]                  // 00000000892C: D3B1403A 18027516
	v_pk_mul_f32 v[60:61], v[22:23], v[60:61]                  // 000000008934: D3B1403C 18027916
	v_pk_mul_f32 v[62:63], v[22:23], v[62:63]                  // 00000000893C: D3B1403E 18027D16
	v_pk_mul_f32 v[64:65], v[22:23], v[64:65]                  // 000000008944: D3B14040 18028116
	v_pk_mul_f32 v[66:67], v[22:23], v[66:67]                  // 00000000894C: D3B14042 18028516
	v_pk_mul_f32 v[68:69], v[22:23], v[68:69]                  // 000000008954: D3B14044 18028916
	v_pk_mul_f32 v[70:71], v[22:23], v[70:71]                  // 00000000895C: D3B14046 18028D16
	v_pk_mul_f32 v[72:73], v[22:23], v[72:73]                  // 000000008964: D3B14048 18029116
	v_pk_mul_f32 v[74:75], v[22:23], v[74:75]                  // 00000000896C: D3B1404A 18029516
	v_pk_mul_f32 v[76:77], v[22:23], v[76:77]                  // 000000008974: D3B1404C 18029916
	v_pk_mul_f32 v[78:79], v[22:23], v[78:79]                  // 00000000897C: D3B1404E 18029D16
	v_pk_mul_f32 v[80:81], v[22:23], v[80:81]                  // 000000008984: D3B14050 1802A116
	v_pk_mul_f32 v[82:83], v[22:23], v[82:83]                  // 00000000898C: D3B14052 1802A516
	v_pk_mul_f32 v[84:85], v[22:23], v[84:85]                  // 000000008994: D3B14054 1802A916
	v_pk_mul_f32 v[86:87], v[22:23], v[86:87]                  // 00000000899C: D3B14056 1802AD16
	v_pk_mul_f32 v[88:89], v[22:23], v[88:89]                  // 0000000089A4: D3B14058 1802B116
	v_pk_mul_f32 v[90:91], v[22:23], v[90:91]                  // 0000000089AC: D3B1405A 1802B516
	v_pk_mul_f32 v[92:93], v[22:23], v[92:93]                  // 0000000089B4: D3B1405C 1802B916
	v_pk_mul_f32 v[94:95], v[22:23], v[94:95]                  // 0000000089BC: D3B1405E 1802BD16
	v_pk_mul_f32 v[96:97], v[22:23], v[96:97]                  // 0000000089C4: D3B14060 1802C116
	v_pk_mul_f32 v[98:99], v[22:23], v[98:99]                  // 0000000089CC: D3B14062 1802C516
	v_pk_mul_f32 v[100:101], v[22:23], v[100:101]              // 0000000089D4: D3B14064 1802C916
	v_pk_mul_f32 v[102:103], v[22:23], v[102:103]              // 0000000089DC: D3B14066 1802CD16
	v_pk_mul_f32 v[104:105], v[22:23], v[104:105]              // 0000000089E4: D3B14068 1802D116
	v_pk_mul_f32 v[106:107], v[22:23], v[106:107]              // 0000000089EC: D3B1406A 1802D516
	v_pk_mul_f32 v[108:109], v[22:23], v[108:109]              // 0000000089F4: D3B1406C 1802D916
	v_pk_mul_f32 v[110:111], v[22:23], v[110:111]              // 0000000089FC: D3B1406E 1802DD16
	v_pk_mul_f32 v[112:113], v[22:23], v[112:113]              // 000000008A04: D3B14070 1802E116
	v_pk_mul_f32 v[114:115], v[22:23], v[114:115]              // 000000008A0C: D3B14072 1802E516
	v_pk_mul_f32 v[116:117], v[22:23], v[116:117]              // 000000008A14: D3B14074 1802E916
	v_pk_mul_f32 v[118:119], v[22:23], v[118:119]              // 000000008A1C: D3B14076 1802ED16
	v_pk_mul_f32 v[120:121], v[22:23], v[120:121]              // 000000008A24: D3B14078 1802F116
	v_pk_mul_f32 v[122:123], v[22:23], v[122:123]              // 000000008A2C: D3B1407A 1802F516
	v_pk_mul_f32 v[124:125], v[22:23], v[124:125]              // 000000008A34: D3B1407C 1802F916
	v_pk_mul_f32 v[126:127], v[22:23], v[126:127]              // 000000008A3C: D3B1407E 1802FD16
	v_pk_mul_f32 v[128:129], v[22:23], v[128:129]              // 000000008A44: D3B14080 18030116
	v_pk_mul_f32 v[130:131], v[22:23], v[130:131]              // 000000008A4C: D3B14082 18030516
	v_pk_mul_f32 v[132:133], v[22:23], v[132:133]              // 000000008A54: D3B14084 18030916
	v_pk_mul_f32 v[134:135], v[22:23], v[134:135]              // 000000008A5C: D3B14086 18030D16
	v_pk_mul_f32 v[136:137], v[22:23], v[136:137]              // 000000008A64: D3B14088 18031116
	v_pk_mul_f32 v[138:139], v[22:23], v[138:139]              // 000000008A6C: D3B1408A 18031516
	v_pk_mul_f32 v[140:141], v[22:23], v[140:141]              // 000000008A74: D3B1408C 18031916
	v_pk_mul_f32 v[142:143], v[22:23], v[142:143]              // 000000008A7C: D3B1408E 18031D16
	v_pk_mul_f32 v[144:145], v[22:23], v[144:145]              // 000000008A84: D3B14090 18032116
	v_pk_mul_f32 v[146:147], v[22:23], v[146:147]              // 000000008A8C: D3B14092 18032516
	v_pk_mul_f32 v[148:149], v[22:23], v[148:149]              // 000000008A94: D3B14094 18032916
	v_pk_mul_f32 v[150:151], v[22:23], v[150:151]              // 000000008A9C: D3B14096 18032D16
	v_pk_mul_f32 v[152:153], v[22:23], v[152:153]              // 000000008AA4: D3B14098 18033116
	v_pk_mul_f32 v[154:155], v[22:23], v[154:155]              // 000000008AAC: D3B1409A 18033516
	v_accvgpr_read_b32 v20, a144                               // 000000008AB4: D3D84014 18000190
	v_accvgpr_read_b32 v21, a145                               // 000000008ABC: D3D84015 18000191
	v_pk_mul_f32 v[20:21], v[22:23], v[20:21]                  // 000000008AC4: D3B14014 18022916
	v_accvgpr_write_b32 a144, v20                              // 000000008ACC: D3D94090 18000114
	v_accvgpr_write_b32 a145, v21                              // 000000008AD4: D3D94091 18000115
	v_accvgpr_read_b32 v20, a146                               // 000000008ADC: D3D84014 18000192
	v_accvgpr_read_b32 v21, a147                               // 000000008AE4: D3D84015 18000193
	v_pk_mul_f32 v[20:21], v[22:23], v[20:21]                  // 000000008AEC: D3B14014 18022916
	v_accvgpr_write_b32 a146, v20                              // 000000008AF4: D3D94092 18000114
	v_accvgpr_write_b32 a147, v21                              // 000000008AFC: D3D94093 18000115
	v_accvgpr_read_b32 v20, a148                               // 000000008B04: D3D84014 18000194
	v_accvgpr_read_b32 v21, a149                               // 000000008B0C: D3D84015 18000195
	v_pk_mul_f32 v[20:21], v[22:23], v[20:21]                  // 000000008B14: D3B14014 18022916
	v_accvgpr_write_b32 a148, v20                              // 000000008B1C: D3D94094 18000114
	v_accvgpr_write_b32 a149, v21                              // 000000008B24: D3D94095 18000115
	v_accvgpr_read_b32 v20, a150                               // 000000008B2C: D3D84014 18000196
	v_accvgpr_read_b32 v21, a151                               // 000000008B34: D3D84015 18000197
	v_pk_mul_f32 v[20:21], v[22:23], v[20:21]                  // 000000008B3C: D3B14014 18022916
	v_accvgpr_write_b32 a150, v20                              // 000000008B44: D3D94096 18000114
	v_accvgpr_write_b32 a151, v21                              // 000000008B4C: D3D94097 18000115
	v_accvgpr_read_b32 v20, a152                               // 000000008B54: D3D84014 18000198
	v_accvgpr_read_b32 v21, a153                               // 000000008B5C: D3D84015 18000199
	v_pk_mul_f32 v[20:21], v[22:23], v[20:21]                  // 000000008B64: D3B14014 18022916
	v_accvgpr_write_b32 a152, v20                              // 000000008B6C: D3D94098 18000114
	v_accvgpr_write_b32 a153, v21                              // 000000008B74: D3D94099 18000115
	v_accvgpr_read_b32 v20, a154                               // 000000008B7C: D3D84014 1800019A
	v_accvgpr_read_b32 v21, a155                               // 000000008B84: D3D84015 1800019B
	v_pk_mul_f32 v[20:21], v[22:23], v[20:21]                  // 000000008B8C: D3B14014 18022916
	v_accvgpr_write_b32 a154, v20                              // 000000008B94: D3D9409A 18000114
	v_accvgpr_write_b32 a155, v21                              // 000000008B9C: D3D9409B 18000115
	v_accvgpr_read_b32 v20, a156                               // 000000008BA4: D3D84014 1800019C
	v_accvgpr_read_b32 v21, a157                               // 000000008BAC: D3D84015 1800019D
	v_pk_mul_f32 v[20:21], v[22:23], v[20:21]                  // 000000008BB4: D3B14014 18022916
	v_accvgpr_write_b32 a156, v20                              // 000000008BBC: D3D9409C 18000114
	v_accvgpr_write_b32 a157, v21                              // 000000008BC4: D3D9409D 18000115
	v_accvgpr_read_b32 v20, a158                               // 000000008BCC: D3D84014 1800019E
	v_accvgpr_read_b32 v21, a159                               // 000000008BD4: D3D84015 1800019F
	v_pk_mul_f32 v[20:21], v[22:23], v[20:21]                  // 000000008BDC: D3B14014 18022916
	v_accvgpr_write_b32 a158, v20                              // 000000008BE4: D3D9409E 18000114
	v_accvgpr_write_b32 a159, v21                              // 000000008BEC: D3D9409F 18000115
	v_accvgpr_read_b32 v20, a160                               // 000000008BF4: D3D84014 180001A0
	v_accvgpr_read_b32 v21, a161                               // 000000008BFC: D3D84015 180001A1
	v_pk_mul_f32 v[20:21], v[22:23], v[20:21]                  // 000000008C04: D3B14014 18022916
	v_accvgpr_write_b32 a160, v20                              // 000000008C0C: D3D940A0 18000114
	v_accvgpr_write_b32 a161, v21                              // 000000008C14: D3D940A1 18000115
	v_accvgpr_read_b32 v20, a162                               // 000000008C1C: D3D84014 180001A2
	v_accvgpr_read_b32 v21, a163                               // 000000008C24: D3D84015 180001A3
	v_pk_mul_f32 v[20:21], v[22:23], v[20:21]                  // 000000008C2C: D3B14014 18022916
	v_accvgpr_write_b32 a162, v20                              // 000000008C34: D3D940A2 18000114
	v_accvgpr_write_b32 a163, v21                              // 000000008C3C: D3D940A3 18000115
	v_accvgpr_read_b32 v20, a164                               // 000000008C44: D3D84014 180001A4
	v_accvgpr_read_b32 v21, a165                               // 000000008C4C: D3D84015 180001A5
	v_pk_mul_f32 v[20:21], v[22:23], v[20:21]                  // 000000008C54: D3B14014 18022916
	v_accvgpr_write_b32 a164, v20                              // 000000008C5C: D3D940A4 18000114
	v_accvgpr_write_b32 a165, v21                              // 000000008C64: D3D940A5 18000115
	v_accvgpr_read_b32 v20, a166                               // 000000008C6C: D3D84014 180001A6
	v_accvgpr_read_b32 v21, a167                               // 000000008C74: D3D84015 180001A7
	v_pk_mul_f32 v[20:21], v[22:23], v[20:21]                  // 000000008C7C: D3B14014 18022916
	v_accvgpr_write_b32 a166, v20                              // 000000008C84: D3D940A6 18000114
	v_accvgpr_write_b32 a167, v21                              // 000000008C8C: D3D940A7 18000115
	v_accvgpr_read_b32 v20, a168                               // 000000008C94: D3D84014 180001A8
	v_accvgpr_read_b32 v21, a169                               // 000000008C9C: D3D84015 180001A9
	v_pk_mul_f32 v[20:21], v[22:23], v[20:21]                  // 000000008CA4: D3B14014 18022916
	v_accvgpr_write_b32 a168, v20                              // 000000008CAC: D3D940A8 18000114
	v_accvgpr_write_b32 a169, v21                              // 000000008CB4: D3D940A9 18000115
	v_accvgpr_read_b32 v20, a170                               // 000000008CBC: D3D84014 180001AA
	v_accvgpr_read_b32 v21, a171                               // 000000008CC4: D3D84015 180001AB
	v_pk_mul_f32 v[20:21], v[22:23], v[20:21]                  // 000000008CCC: D3B14014 18022916
	v_accvgpr_write_b32 a170, v20                              // 000000008CD4: D3D940AA 18000114
	v_accvgpr_write_b32 a171, v21                              // 000000008CDC: D3D940AB 18000115
	s_waitcnt lgkmcnt(0)                                       // 000000008CE4: BF8CC07F
	v_mov_b32_e32 v25, 0xff800000                              // 000000008CE8: 7E3202FF FF800000
	s_and_b32 s56, s48, 0xff                                   // 000000008CF0: 8638FF30 000000FF
	v_mov_b32_e32 v24, s56                                     // 000000008CF8: 7E300238
	v_lshrrev_b32_e32 v20, 4, v0                               // 000000008CFC: 20280084
	v_mul_i32_i24_e32 v20, 4, v20                              // 000000008D00: 0C282884
	v_add_u32_e32 v21, 1, v20                                  // 000000008D04: 682A2881
	v_add_u32_e32 v22, 2, v20                                  // 000000008D08: 682C2882
	v_add_u32_e32 v23, 3, v20                                  // 000000008D0C: 682E2883
	v_cmp_lt_u32_e64 s[38:39], v20, v24                        // 000000008D10: D0C90026 00023114
	v_add_u32_e32 v20, 16, v20                                 // 000000008D18: 68282890
	s_nop 0                                                    // 000000008D1C: BF800000
	v_cndmask_b32_e64 v48, v25, v48, s[38:39]                  // 000000008D20: D1000030 009A6119
	v_cmp_lt_u32_e64 s[38:39], v21, v24                        // 000000008D28: D0C90026 00023115
	v_add_u32_e32 v21, 16, v21                                 // 000000008D30: 682A2A90
	s_nop 0                                                    // 000000008D34: BF800000
	v_cndmask_b32_e64 v49, v25, v49, s[38:39]                  // 000000008D38: D1000031 009A6319
	v_cmp_lt_u32_e64 s[38:39], v22, v24                        // 000000008D40: D0C90026 00023116
	v_add_u32_e32 v22, 16, v22                                 // 000000008D48: 682C2C90
	s_nop 0                                                    // 000000008D4C: BF800000
	v_cndmask_b32_e64 v50, v25, v50, s[38:39]                  // 000000008D50: D1000032 009A6519
	v_cmp_lt_u32_e64 s[38:39], v23, v24                        // 000000008D58: D0C90026 00023117
	v_add_u32_e32 v23, 16, v23                                 // 000000008D60: 682E2E90
	s_nop 0                                                    // 000000008D64: BF800000
	v_cndmask_b32_e64 v51, v25, v51, s[38:39]                  // 000000008D68: D1000033 009A6719
	v_cmp_lt_u32_e64 s[38:39], v20, v24                        // 000000008D70: D0C90026 00023114
	v_add_u32_e32 v20, 16, v20                                 // 000000008D78: 68282890
	s_nop 0                                                    // 000000008D7C: BF800000
	v_cndmask_b32_e64 v52, v25, v52, s[38:39]                  // 000000008D80: D1000034 009A6919
	v_cmp_lt_u32_e64 s[38:39], v21, v24                        // 000000008D88: D0C90026 00023115
	v_add_u32_e32 v21, 16, v21                                 // 000000008D90: 682A2A90
	s_nop 0                                                    // 000000008D94: BF800000
	v_cndmask_b32_e64 v53, v25, v53, s[38:39]                  // 000000008D98: D1000035 009A6B19
	v_cmp_lt_u32_e64 s[38:39], v22, v24                        // 000000008DA0: D0C90026 00023116
	v_add_u32_e32 v22, 16, v22                                 // 000000008DA8: 682C2C90
	s_nop 0                                                    // 000000008DAC: BF800000
	v_cndmask_b32_e64 v54, v25, v54, s[38:39]                  // 000000008DB0: D1000036 009A6D19
	v_cmp_lt_u32_e64 s[38:39], v23, v24                        // 000000008DB8: D0C90026 00023117
	v_add_u32_e32 v23, 16, v23                                 // 000000008DC0: 682E2E90
	s_nop 0                                                    // 000000008DC4: BF800000
	v_cndmask_b32_e64 v55, v25, v55, s[38:39]                  // 000000008DC8: D1000037 009A6F19
	v_mfma_f32_16x16x32_fp8_fp8 v[56:59], a[72:73], v[40:41], v[56:59]// 000000008DD0: D3F30038 0CE25148
	ds_read_b128 a[104:107], v7 offset:45312                   // 000000008DD8: DBFEB100 68000007
	ds_read_b128 a[108:111], v7 offset:46336                   // 000000008DE0: DBFEB500 6C000007
	v_mfma_f32_16x16x32_fp8_fp8 v[60:63], a[74:75], v[40:41], v[60:63]// 000000008DE8: D3F3003C 0CF2514A
	v_mfma_f32_16x16x32_fp8_fp8 v[64:67], a[76:77], v[40:41], v[64:67]// 000000008DF0: D3F30040 0D02514C
	v_mfma_f32_16x16x32_fp8_fp8 v[68:71], a[78:79], v[40:41], v[68:71]// 000000008DF8: D3F30044 0D12514E
	v_mfma_f32_16x16x32_fp8_fp8 v[72:75], a[80:81], v[40:41], v[72:75]// 000000008E00: D3F30048 0D225150
	ds_read_b128 a[112:115], v7 offset:47360                   // 000000008E08: DBFEB900 70000007
	ds_read_b128 a[116:119], v7 offset:48384                   // 000000008E10: DBFEBD00 74000007
	v_mfma_f32_16x16x32_fp8_fp8 v[76:79], a[82:83], v[40:41], v[76:79]// 000000008E18: D3F3004C 0D325152
	v_mfma_f32_16x16x32_fp8_fp8 v[80:83], a[84:85], v[40:41], v[80:83]// 000000008E20: D3F30050 0D425154
	v_mfma_f32_16x16x32_fp8_fp8 v[84:87], a[86:87], v[40:41], v[84:87]// 000000008E28: D3F30054 0D525156
	v_mfma_f32_16x16x32_fp8_fp8 v[88:91], a[88:89], v[40:41], v[88:91]// 000000008E30: D3F30058 0D625158
	ds_read_b128 a[120:123], v7 offset:49408                   // 000000008E38: DBFEC100 78000007
	ds_read_b128 a[124:127], v7 offset:50432                   // 000000008E40: DBFEC500 7C000007
	v_mfma_f32_16x16x32_fp8_fp8 v[92:95], a[90:91], v[40:41], v[92:95]// 000000008E48: D3F3005C 0D72515A
	v_mfma_f32_16x16x32_fp8_fp8 v[96:99], a[92:93], v[40:41], v[96:99]// 000000008E50: D3F30060 0D82515C
	v_mfma_f32_16x16x32_fp8_fp8 v[100:103], a[94:95], v[40:41], v[100:103]// 000000008E58: D3F30064 0D92515E
	v_mfma_f32_16x16x32_fp8_fp8 v[104:107], a[96:97], v[40:41], v[104:107]// 000000008E60: D3F30068 0DA25160
	ds_read_b128 a[128:131], v7 offset:51456                   // 000000008E68: DBFEC900 80000007
	ds_read_b128 a[132:135], v7 offset:52480                   // 000000008E70: DBFECD00 84000007
	v_mfma_f32_16x16x32_fp8_fp8 v[108:111], a[98:99], v[40:41], v[108:111]// 000000008E78: D3F3006C 0DB25162
	v_mfma_f32_16x16x32_fp8_fp8 v[112:115], a[100:101], v[40:41], v[112:115]// 000000008E80: D3F30070 0DC25164
	v_mfma_f32_16x16x32_fp8_fp8 v[116:119], a[102:103], v[40:41], v[116:119]// 000000008E88: D3F30074 0DD25166
	s_waitcnt lgkmcnt(4)                                       // 000000008E90: BF8CC47F
	v_mfma_f32_16x16x32_fp8_fp8 v[120:123], a[104:105], v[40:41], v[120:123]// 000000008E94: D3F30078 0DE25168
	v_max3_f32 v24, v48, v49, v48                              // 000000008E9C: D1D30018 04C26330
	v_max3_f32 v24, v50, v51, v24                              // 000000008EA4: D1D30018 04626732
	v_max3_f32 v24, v52, v53, v24                              // 000000008EAC: D1D30018 04626B34
	v_max3_f32 v24, v54, v55, v24                              // 000000008EB4: D1D30018 04626F36
	ds_write_b32 v3, v24 offset:54528                          // 000000008EBC: D81AD500 00001803
	v_mfma_f32_16x16x32_fp8_fp8 v[124:127], a[106:107], v[40:41], v[124:127]// 000000008EC4: D3F3007C 0DF2516A
	v_mfma_f32_16x16x32_fp8_fp8 v[128:131], a[108:109], v[40:41], v[128:131]// 000000008ECC: D3F30080 0E02516C
	v_mfma_f32_16x16x32_fp8_fp8 v[132:135], a[110:111], v[40:41], v[132:135]// 000000008ED4: D3F30084 0E12516E
	v_mfma_f32_16x16x32_fp8_fp8 v[136:139], a[112:113], v[40:41], v[136:139]// 000000008EDC: D3F30088 0E225170
	v_mfma_f32_16x16x32_fp8_fp8 v[140:143], a[114:115], v[40:41], v[140:143]// 000000008EE4: D3F3008C 0E325172
	v_mfma_f32_16x16x32_fp8_fp8 v[144:147], a[116:117], v[40:41], v[144:147]// 000000008EEC: D3F30090 0E425174
	v_mfma_f32_16x16x32_fp8_fp8 v[148:151], a[118:119], v[40:41], v[148:151]// 000000008EF4: D3F30094 0E525176
	s_waitcnt lgkmcnt(0)                                       // 000000008EFC: BF8CC07F
	v_mfma_f32_16x16x32_fp8_fp8 v[152:155], a[120:121], v[40:41], v[152:155]// 000000008F00: D3F30098 0E625178
	s_waitcnt lgkmcnt(0)                                       // 000000008F08: BF8CC07F
	ds_read_b32 v20, v2 offset:54528                           // 000000008F0C: D86CD500 14000002
	ds_read_b32 v21, v2 offset:54592                           // 000000008F14: D86CD540 15000002
	v_mfma_f32_16x16x32_fp8_fp8 a[144:147], a[122:123], v[40:41], a[144:147]// 000000008F1C: D3F38090 0E42517A
	ds_read_b32 v22, v2 offset:54656                           // 000000008F24: D86CD580 16000002
	ds_read_b32 v23, v2 offset:54720                           // 000000008F2C: D86CD5C0 17000002
	v_mfma_f32_16x16x32_fp8_fp8 a[148:151], a[124:125], v[40:41], a[148:151]// 000000008F34: D3F38094 0E52517C
	v_mfma_f32_16x16x32_fp8_fp8 a[152:155], a[126:127], v[40:41], a[152:155]// 000000008F3C: D3F38098 0E62517E
	v_mfma_f32_16x16x32_fp8_fp8 a[156:159], a[128:129], v[40:41], a[156:159]// 000000008F44: D3F3809C 0E725180
	v_mfma_f32_16x16x32_fp8_fp8 a[160:163], a[130:131], v[40:41], a[160:163]// 000000008F4C: D3F380A0 0E825182
	v_mfma_f32_16x16x32_fp8_fp8 a[164:167], a[132:133], v[40:41], a[164:167]// 000000008F54: D3F380A4 0E925184
	v_mfma_f32_16x16x32_fp8_fp8 a[168:171], a[134:135], v[40:41], a[168:171]// 000000008F5C: D3F380A8 0EA25186
	s_waitcnt lgkmcnt(0)                                       // 000000008F64: BF8CC07F
	v_max3_f32 v24, v20, v21, v24                              // 000000008F68: D1D30018 04622B14
	v_max3_f32 v24, v22, v23, v24                              // 000000008F70: D1D30018 04622F16
	v_mov_b32_e32 v25, 0xff7fffff                              // 000000008F78: 7E3202FF FF7FFFFF
	v_cmp_eq_u32_e64 s[38:39], v25, v13                        // 000000008F80: D0CA0026 00021B19
	v_max_f32_e32 v20, v24, v13                                // 000000008F88: 16281B18
	v_sub_f32_e32 v17, v13, v20                                // 000000008F8C: 0422290D
	v_cndmask_b32_e64 v17, v17, 0, s[38:39]                    // 000000008F90: D1000011 00990111
	v_mov_b32_e32 v13, v20                                     // 000000008F98: 7E1A0314
	v_mul_f32_e32 v21, s5, v20                                 // 000000008F9C: 0A2A2805
	v_mul_f32_e32 v17, s5, v17                                 // 000000008FA0: 0A222205
	v_exp_f32_e32 v17, v17                                     // 000000008FA4: 7E224111
	v_fma_f32 v48, v48, s5, -v21                               // 000000008FA8: D1CB0030 84540B30
	v_fma_f32 v49, v49, s5, -v21                               // 000000008FB0: D1CB0031 84540B31
	v_fma_f32 v50, v50, s5, -v21                               // 000000008FB8: D1CB0032 84540B32
	v_fma_f32 v51, v51, s5, -v21                               // 000000008FC0: D1CB0033 84540B33
	v_fma_f32 v52, v52, s5, -v21                               // 000000008FC8: D1CB0034 84540B34
	v_fma_f32 v53, v53, s5, -v21                               // 000000008FD0: D1CB0035 84540B35
	v_fma_f32 v54, v54, s5, -v21                               // 000000008FD8: D1CB0036 84540B36
	v_fma_f32 v55, v55, s5, -v21                               // 000000008FE0: D1CB0037 84540B37
	v_exp_f32_e32 v48, v48                                     // 000000008FE8: 7E604130
	v_exp_f32_e32 v49, v49                                     // 000000008FEC: 7E624131
	v_exp_f32_e32 v50, v50                                     // 000000008FF0: 7E644132
	v_exp_f32_e32 v51, v51                                     // 000000008FF4: 7E664133
	v_exp_f32_e32 v52, v52                                     // 000000008FF8: 7E684134
	v_exp_f32_e32 v53, v53                                     // 000000008FFC: 7E6A4135
	v_exp_f32_e32 v54, v54                                     // 000000009000: 7E6C4136
	v_exp_f32_e32 v55, v55                                     // 000000009004: 7E6E4137
	v_mul_f32_e32 v15, v17, v15                                // 000000009008: 0A1E1F11
	v_mov_b32_e32 v22, v48                                     // 00000000900C: 7E2C0330
	v_add_f32_e32 v22, v49, v22                                // 000000009010: 022C2D31
	v_add_f32_e32 v22, v50, v22                                // 000000009014: 022C2D32
	v_add_f32_e32 v22, v51, v22                                // 000000009018: 022C2D33
	v_add_f32_e32 v22, v52, v22                                // 00000000901C: 022C2D34
	v_add_f32_e32 v22, v53, v22                                // 000000009020: 022C2D35
	v_add_f32_e32 v22, v54, v22                                // 000000009024: 022C2D36
	v_add_f32_e32 v22, v55, v22                                // 000000009028: 022C2D37
	v_add_f32_e32 v15, v22, v15                                // 00000000902C: 021E1F16
	v_cvt_pk_fp8_f32 v42, v48, v49                             // 000000009030: D2A2002A 00026330
	v_cvt_pk_fp8_f32 v42, v50, v51 op_sel:[0,0,1]              // 000000009038: D2A2402A 00026732
	v_cvt_pk_fp8_f32 v43, v52, v53                             // 000000009040: D2A2002B 00026B34
	v_cvt_pk_fp8_f32 v43, v54, v55 op_sel:[0,0,1]              // 000000009048: D2A2402B 00026F36
	s_nop 0                                                    // 000000009050: BF800000
	v_mov_b32_e32 v22, v17                                     // 000000009054: 7E2C0311
	v_mov_b32_e32 v23, v17                                     // 000000009058: 7E2E0311
	v_pk_mul_f32 v[156:157], v[22:23], v[156:157]              // 00000000905C: D3B1409C 18033916
	v_pk_mul_f32 v[158:159], v[22:23], v[158:159]              // 000000009064: D3B1409E 18033D16
	v_pk_mul_f32 v[160:161], v[22:23], v[160:161]              // 00000000906C: D3B140A0 18034116
	v_pk_mul_f32 v[162:163], v[22:23], v[162:163]              // 000000009074: D3B140A2 18034516
	v_pk_mul_f32 v[164:165], v[22:23], v[164:165]              // 00000000907C: D3B140A4 18034916
	v_pk_mul_f32 v[166:167], v[22:23], v[166:167]              // 000000009084: D3B140A6 18034D16
	v_pk_mul_f32 v[168:169], v[22:23], v[168:169]              // 00000000908C: D3B140A8 18035116
	v_pk_mul_f32 v[170:171], v[22:23], v[170:171]              // 000000009094: D3B140AA 18035516
	v_pk_mul_f32 v[172:173], v[22:23], v[172:173]              // 00000000909C: D3B140AC 18035916
	v_pk_mul_f32 v[174:175], v[22:23], v[174:175]              // 0000000090A4: D3B140AE 18035D16
	v_pk_mul_f32 v[176:177], v[22:23], v[176:177]              // 0000000090AC: D3B140B0 18036116
	v_pk_mul_f32 v[178:179], v[22:23], v[178:179]              // 0000000090B4: D3B140B2 18036516
	v_pk_mul_f32 v[180:181], v[22:23], v[180:181]              // 0000000090BC: D3B140B4 18036916
	v_pk_mul_f32 v[182:183], v[22:23], v[182:183]              // 0000000090C4: D3B140B6 18036D16
	v_pk_mul_f32 v[184:185], v[22:23], v[184:185]              // 0000000090CC: D3B140B8 18037116
	v_pk_mul_f32 v[186:187], v[22:23], v[186:187]              // 0000000090D4: D3B140BA 18037516
	v_pk_mul_f32 v[188:189], v[22:23], v[188:189]              // 0000000090DC: D3B140BC 18037916
	v_pk_mul_f32 v[190:191], v[22:23], v[190:191]              // 0000000090E4: D3B140BE 18037D16
	v_pk_mul_f32 v[192:193], v[22:23], v[192:193]              // 0000000090EC: D3B140C0 18038116
	v_pk_mul_f32 v[194:195], v[22:23], v[194:195]              // 0000000090F4: D3B140C2 18038516
	v_pk_mul_f32 v[196:197], v[22:23], v[196:197]              // 0000000090FC: D3B140C4 18038916
	v_pk_mul_f32 v[198:199], v[22:23], v[198:199]              // 000000009104: D3B140C6 18038D16
	v_pk_mul_f32 v[200:201], v[22:23], v[200:201]              // 00000000910C: D3B140C8 18039116
	v_pk_mul_f32 v[202:203], v[22:23], v[202:203]              // 000000009114: D3B140CA 18039516
	v_pk_mul_f32 v[204:205], v[22:23], v[204:205]              // 00000000911C: D3B140CC 18039916
	v_pk_mul_f32 v[206:207], v[22:23], v[206:207]              // 000000009124: D3B140CE 18039D16
	v_pk_mul_f32 v[208:209], v[22:23], v[208:209]              // 00000000912C: D3B140D0 1803A116
	v_pk_mul_f32 v[210:211], v[22:23], v[210:211]              // 000000009134: D3B140D2 1803A516
	v_pk_mul_f32 v[212:213], v[22:23], v[212:213]              // 00000000913C: D3B140D4 1803A916
	v_pk_mul_f32 v[214:215], v[22:23], v[214:215]              // 000000009144: D3B140D6 1803AD16
	v_pk_mul_f32 v[216:217], v[22:23], v[216:217]              // 00000000914C: D3B140D8 1803B116
	v_pk_mul_f32 v[218:219], v[22:23], v[218:219]              // 000000009154: D3B140DA 1803B516
	v_pk_mul_f32 v[220:221], v[22:23], v[220:221]              // 00000000915C: D3B140DC 1803B916
	v_pk_mul_f32 v[222:223], v[22:23], v[222:223]              // 000000009164: D3B140DE 1803BD16
	v_pk_mul_f32 v[224:225], v[22:23], v[224:225]              // 00000000916C: D3B140E0 1803C116
	v_pk_mul_f32 v[226:227], v[22:23], v[226:227]              // 000000009174: D3B140E2 1803C516
	v_pk_mul_f32 v[228:229], v[22:23], v[228:229]              // 00000000917C: D3B140E4 1803C916
	v_pk_mul_f32 v[230:231], v[22:23], v[230:231]              // 000000009184: D3B140E6 1803CD16
	v_pk_mul_f32 v[232:233], v[22:23], v[232:233]              // 00000000918C: D3B140E8 1803D116
	v_pk_mul_f32 v[234:235], v[22:23], v[234:235]              // 000000009194: D3B140EA 1803D516
	v_pk_mul_f32 v[236:237], v[22:23], v[236:237]              // 00000000919C: D3B140EC 1803D916
	v_pk_mul_f32 v[238:239], v[22:23], v[238:239]              // 0000000091A4: D3B140EE 1803DD16
	v_pk_mul_f32 v[240:241], v[22:23], v[240:241]              // 0000000091AC: D3B140F0 1803E116
	v_pk_mul_f32 v[242:243], v[22:23], v[242:243]              // 0000000091B4: D3B140F2 1803E516
	v_pk_mul_f32 v[244:245], v[22:23], v[244:245]              // 0000000091BC: D3B140F4 1803E916
	v_pk_mul_f32 v[246:247], v[22:23], v[246:247]              // 0000000091C4: D3B140F6 1803ED16
	v_pk_mul_f32 v[248:249], v[22:23], v[248:249]              // 0000000091CC: D3B140F8 1803F116
	v_pk_mul_f32 v[250:251], v[22:23], v[250:251]              // 0000000091D4: D3B140FA 1803F516
	v_pk_mul_f32 v[252:253], v[22:23], v[252:253]              // 0000000091DC: D3B140FC 1803F916
	v_pk_mul_f32 v[254:255], v[22:23], v[254:255]              // 0000000091E4: D3B140FE 1803FD16
	v_accvgpr_read_b32 v20, a172                               // 0000000091EC: D3D84014 180001AC
	v_accvgpr_read_b32 v21, a173                               // 0000000091F4: D3D84015 180001AD
	v_pk_mul_f32 v[20:21], v[22:23], v[20:21]                  // 0000000091FC: D3B14014 18022916
	v_accvgpr_write_b32 a172, v20                              // 000000009204: D3D940AC 18000114
	v_accvgpr_write_b32 a173, v21                              // 00000000920C: D3D940AD 18000115
	v_accvgpr_read_b32 v20, a174                               // 000000009214: D3D84014 180001AE
	v_accvgpr_read_b32 v21, a175                               // 00000000921C: D3D84015 180001AF
	v_pk_mul_f32 v[20:21], v[22:23], v[20:21]                  // 000000009224: D3B14014 18022916
	v_accvgpr_write_b32 a174, v20                              // 00000000922C: D3D940AE 18000114
	v_accvgpr_write_b32 a175, v21                              // 000000009234: D3D940AF 18000115
	v_accvgpr_read_b32 v20, a176                               // 00000000923C: D3D84014 180001B0
	v_accvgpr_read_b32 v21, a177                               // 000000009244: D3D84015 180001B1
	v_pk_mul_f32 v[20:21], v[22:23], v[20:21]                  // 00000000924C: D3B14014 18022916
	v_accvgpr_write_b32 a176, v20                              // 000000009254: D3D940B0 18000114
	v_accvgpr_write_b32 a177, v21                              // 00000000925C: D3D940B1 18000115
	v_accvgpr_read_b32 v20, a178                               // 000000009264: D3D84014 180001B2
	v_accvgpr_read_b32 v21, a179                               // 00000000926C: D3D84015 180001B3
	v_pk_mul_f32 v[20:21], v[22:23], v[20:21]                  // 000000009274: D3B14014 18022916
	v_accvgpr_write_b32 a178, v20                              // 00000000927C: D3D940B2 18000114
	v_accvgpr_write_b32 a179, v21                              // 000000009284: D3D940B3 18000115
	v_accvgpr_read_b32 v20, a180                               // 00000000928C: D3D84014 180001B4
	v_accvgpr_read_b32 v21, a181                               // 000000009294: D3D84015 180001B5
	v_pk_mul_f32 v[20:21], v[22:23], v[20:21]                  // 00000000929C: D3B14014 18022916
	v_accvgpr_write_b32 a180, v20                              // 0000000092A4: D3D940B4 18000114
	v_accvgpr_write_b32 a181, v21                              // 0000000092AC: D3D940B5 18000115
	v_accvgpr_read_b32 v20, a182                               // 0000000092B4: D3D84014 180001B6
	v_accvgpr_read_b32 v21, a183                               // 0000000092BC: D3D84015 180001B7
	v_pk_mul_f32 v[20:21], v[22:23], v[20:21]                  // 0000000092C4: D3B14014 18022916
	v_accvgpr_write_b32 a182, v20                              // 0000000092CC: D3D940B6 18000114
	v_accvgpr_write_b32 a183, v21                              // 0000000092D4: D3D940B7 18000115
	v_accvgpr_read_b32 v20, a184                               // 0000000092DC: D3D84014 180001B8
	v_accvgpr_read_b32 v21, a185                               // 0000000092E4: D3D84015 180001B9
	v_pk_mul_f32 v[20:21], v[22:23], v[20:21]                  // 0000000092EC: D3B14014 18022916
	v_accvgpr_write_b32 a184, v20                              // 0000000092F4: D3D940B8 18000114
	v_accvgpr_write_b32 a185, v21                              // 0000000092FC: D3D940B9 18000115
	v_accvgpr_read_b32 v20, a186                               // 000000009304: D3D84014 180001BA
	v_accvgpr_read_b32 v21, a187                               // 00000000930C: D3D84015 180001BB
	v_pk_mul_f32 v[20:21], v[22:23], v[20:21]                  // 000000009314: D3B14014 18022916
	v_accvgpr_write_b32 a186, v20                              // 00000000931C: D3D940BA 18000114
	v_accvgpr_write_b32 a187, v21                              // 000000009324: D3D940BB 18000115
	v_accvgpr_read_b32 v20, a188                               // 00000000932C: D3D84014 180001BC
	v_accvgpr_read_b32 v21, a189                               // 000000009334: D3D84015 180001BD
	v_pk_mul_f32 v[20:21], v[22:23], v[20:21]                  // 00000000933C: D3B14014 18022916
	v_accvgpr_write_b32 a188, v20                              // 000000009344: D3D940BC 18000114
	v_accvgpr_write_b32 a189, v21                              // 00000000934C: D3D940BD 18000115
	v_accvgpr_read_b32 v20, a190                               // 000000009354: D3D84014 180001BE
	v_accvgpr_read_b32 v21, a191                               // 00000000935C: D3D84015 180001BF
	v_pk_mul_f32 v[20:21], v[22:23], v[20:21]                  // 000000009364: D3B14014 18022916
	v_accvgpr_write_b32 a190, v20                              // 00000000936C: D3D940BE 18000114
	v_accvgpr_write_b32 a191, v21                              // 000000009374: D3D940BF 18000115
	v_accvgpr_read_b32 v20, a192                               // 00000000937C: D3D84014 180001C0
	v_accvgpr_read_b32 v21, a193                               // 000000009384: D3D84015 180001C1
	v_pk_mul_f32 v[20:21], v[22:23], v[20:21]                  // 00000000938C: D3B14014 18022916
	v_accvgpr_write_b32 a192, v20                              // 000000009394: D3D940C0 18000114
	v_accvgpr_write_b32 a193, v21                              // 00000000939C: D3D940C1 18000115
	v_accvgpr_read_b32 v20, a194                               // 0000000093A4: D3D84014 180001C2
	v_accvgpr_read_b32 v21, a195                               // 0000000093AC: D3D84015 180001C3
	v_pk_mul_f32 v[20:21], v[22:23], v[20:21]                  // 0000000093B4: D3B14014 18022916
	v_accvgpr_write_b32 a194, v20                              // 0000000093BC: D3D940C2 18000114
	v_accvgpr_write_b32 a195, v21                              // 0000000093C4: D3D940C3 18000115
	v_accvgpr_read_b32 v20, a196                               // 0000000093CC: D3D84014 180001C4
	v_accvgpr_read_b32 v21, a197                               // 0000000093D4: D3D84015 180001C5
	v_pk_mul_f32 v[20:21], v[22:23], v[20:21]                  // 0000000093DC: D3B14014 18022916
	v_accvgpr_write_b32 a196, v20                              // 0000000093E4: D3D940C4 18000114
	v_accvgpr_write_b32 a197, v21                              // 0000000093EC: D3D940C5 18000115
	v_accvgpr_read_b32 v20, a198                               // 0000000093F4: D3D84014 180001C6
	v_accvgpr_read_b32 v21, a199                               // 0000000093FC: D3D84015 180001C7
	v_pk_mul_f32 v[20:21], v[22:23], v[20:21]                  // 000000009404: D3B14014 18022916
	v_accvgpr_write_b32 a198, v20                              // 00000000940C: D3D940C6 18000114
	v_accvgpr_write_b32 a199, v21                              // 000000009414: D3D940C7 18000115
	s_waitcnt vmcnt(18) lgkmcnt(0)                             // 00000000941C: BF8C4072
	s_barrier                                                  // 000000009420: BF8A0000
	v_mfma_f32_16x16x32_fp8_fp8 v[156:159], a[72:73], v[42:43], v[156:159]// 000000009424: D3F3009C 0E725548
	v_mfma_f32_16x16x32_fp8_fp8 v[160:163], a[74:75], v[42:43], v[160:163]// 00000000942C: D3F300A0 0E82554A
	v_mfma_f32_16x16x32_fp8_fp8 v[164:167], a[76:77], v[42:43], v[164:167]// 000000009434: D3F300A4 0E92554C
	v_mfma_f32_16x16x32_fp8_fp8 v[168:171], a[78:79], v[42:43], v[168:171]// 00000000943C: D3F300A8 0EA2554E
	v_mfma_f32_16x16x32_fp8_fp8 v[172:175], a[80:81], v[42:43], v[172:175]// 000000009444: D3F300AC 0EB25550
	v_mfma_f32_16x16x32_fp8_fp8 v[176:179], a[82:83], v[42:43], v[176:179]// 00000000944C: D3F300B0 0EC25552
	v_mfma_f32_16x16x32_fp8_fp8 v[180:183], a[84:85], v[42:43], v[180:183]// 000000009454: D3F300B4 0ED25554
	v_mfma_f32_16x16x32_fp8_fp8 v[184:187], a[86:87], v[42:43], v[184:187]// 00000000945C: D3F300B8 0EE25556
	v_mfma_f32_16x16x32_fp8_fp8 v[188:191], a[88:89], v[42:43], v[188:191]// 000000009464: D3F300BC 0EF25558
	v_mfma_f32_16x16x32_fp8_fp8 v[192:195], a[90:91], v[42:43], v[192:195]// 00000000946C: D3F300C0 0F02555A
	v_mfma_f32_16x16x32_fp8_fp8 v[196:199], a[92:93], v[42:43], v[196:199]// 000000009474: D3F300C4 0F12555C
	v_mfma_f32_16x16x32_fp8_fp8 v[200:203], a[94:95], v[42:43], v[200:203]// 00000000947C: D3F300C8 0F22555E
	v_mfma_f32_16x16x32_fp8_fp8 v[204:207], a[96:97], v[42:43], v[204:207]// 000000009484: D3F300CC 0F325560
	v_mfma_f32_16x16x32_fp8_fp8 v[208:211], a[98:99], v[42:43], v[208:211]// 00000000948C: D3F300D0 0F425562
	v_mfma_f32_16x16x32_fp8_fp8 v[212:215], a[100:101], v[42:43], v[212:215]// 000000009494: D3F300D4 0F525564
	v_mfma_f32_16x16x32_fp8_fp8 v[216:219], a[102:103], v[42:43], v[216:219]// 00000000949C: D3F300D8 0F625566
	v_mfma_f32_16x16x32_fp8_fp8 v[220:223], a[104:105], v[42:43], v[220:223]// 0000000094A4: D3F300DC 0F725568
	v_mfma_f32_16x16x32_fp8_fp8 v[224:227], a[106:107], v[42:43], v[224:227]// 0000000094AC: D3F300E0 0F82556A
	v_mfma_f32_16x16x32_fp8_fp8 v[228:231], a[108:109], v[42:43], v[228:231]// 0000000094B4: D3F300E4 0F92556C
	v_mfma_f32_16x16x32_fp8_fp8 v[232:235], a[110:111], v[42:43], v[232:235]// 0000000094BC: D3F300E8 0FA2556E
	v_mfma_f32_16x16x32_fp8_fp8 v[236:239], a[112:113], v[42:43], v[236:239]// 0000000094C4: D3F300EC 0FB25570
	v_mfma_f32_16x16x32_fp8_fp8 v[240:243], a[114:115], v[42:43], v[240:243]// 0000000094CC: D3F300F0 0FC25572
	v_mfma_f32_16x16x32_fp8_fp8 v[244:247], a[116:117], v[42:43], v[244:247]// 0000000094D4: D3F300F4 0FD25574
	v_mfma_f32_16x16x32_fp8_fp8 v[248:251], a[118:119], v[42:43], v[248:251]// 0000000094DC: D3F300F8 0FE25576
	v_mfma_f32_16x16x32_fp8_fp8 v[252:255], a[120:121], v[42:43], v[252:255]// 0000000094E4: D3F300FC 0FF25578
	v_mfma_f32_16x16x32_fp8_fp8 a[172:175], a[122:123], v[42:43], a[172:175]// 0000000094EC: D3F380AC 0EB2557A
	v_mfma_f32_16x16x32_fp8_fp8 a[176:179], a[124:125], v[42:43], a[176:179]// 0000000094F4: D3F380B0 0EC2557C
	v_mfma_f32_16x16x32_fp8_fp8 a[180:183], a[126:127], v[42:43], a[180:183]// 0000000094FC: D3F380B4 0ED2557E
	v_mfma_f32_16x16x32_fp8_fp8 a[184:187], a[128:129], v[42:43], a[184:187]// 000000009504: D3F380B8 0EE25580
	v_mfma_f32_16x16x32_fp8_fp8 a[188:191], a[130:131], v[42:43], a[188:191]// 00000000950C: D3F380BC 0EF25582
	v_mfma_f32_16x16x32_fp8_fp8 a[192:195], a[132:133], v[42:43], a[192:195]// 000000009514: D3F380C0 0F025584
	v_mfma_f32_16x16x32_fp8_fp8 a[196:199], a[134:135], v[42:43], a[196:199]// 00000000951C: D3F380C4 0F125586
	s_nop 8                                                    // 000000009524: BF800008
	s_branch label_20F7                                        // 000000009528: BF82046C

000000000000952c <label_1C8B>:
	s_waitcnt lgkmcnt(4)                                       // 00000000952C: BF8CC47F
	v_mfma_f32_16x16x32_fp8_fp8 v[40:43], a[72:73], a[0:1], 0  // 000000009530: D3F30028 1A020148
	ds_read_b128 a[104:107], v4 offset:20608                   // 000000009538: DBFE5080 68000004
	ds_read_b128 a[108:111], v4 offset:18688                   // 000000009540: DBFE4900 6C000004
	v_mfma_f32_16x16x32_fp8_fp8 v[40:43], a[74:75], a[2:3], v[40:43]// 000000009548: D3F30028 1CA2054A
	v_mfma_f32_16x16x32_fp8_fp8 v[40:43], a[76:77], a[4:5], v[40:43]// 000000009550: D3F30028 1CA2094C
	v_mfma_f32_16x16x32_fp8_fp8 v[40:43], a[78:79], a[6:7], v[40:43]// 000000009558: D3F30028 1CA20D4E
	v_mfma_f32_16x16x32_fp8_fp8 v[40:43], a[80:81], a[8:9], v[40:43]// 000000009560: D3F30028 1CA21150
	ds_read_b128 a[112:115], v4 offset:18944                   // 000000009568: DBFE4A00 70000004
	ds_read_b128 a[116:119], v4 offset:19200                   // 000000009570: DBFE4B00 74000004
	v_mfma_f32_16x16x32_fp8_fp8 v[40:43], a[82:83], a[10:11], v[40:43]// 000000009578: D3F30028 1CA21552
	v_mfma_f32_16x16x32_fp8_fp8 v[40:43], a[84:85], a[12:13], v[40:43]// 000000009580: D3F30028 1CA21954
	v_mfma_f32_16x16x32_fp8_fp8 v[40:43], a[86:87], a[14:15], v[40:43]// 000000009588: D3F30028 1CA21D56
	s_waitcnt lgkmcnt(4)                                       // 000000009590: BF8CC47F
	v_mfma_f32_16x16x32_fp8_fp8 v[40:43], a[88:89], a[16:17], v[40:43]// 000000009594: D3F30028 1CA22158
	ds_read_b128 a[120:123], v4 offset:19456                   // 00000000959C: DBFE4C00 78000004
	ds_read_b128 a[124:127], v4 offset:19712                   // 0000000095A4: DBFE4D00 7C000004
	v_mfma_f32_16x16x32_fp8_fp8 v[40:43], a[90:91], a[18:19], v[40:43]// 0000000095AC: D3F30028 1CA2255A
	v_mfma_f32_16x16x32_fp8_fp8 v[40:43], a[92:93], a[20:21], v[40:43]// 0000000095B4: D3F30028 1CA2295C
	v_mfma_f32_16x16x32_fp8_fp8 v[40:43], a[94:95], a[22:23], v[40:43]// 0000000095BC: D3F30028 1CA22D5E
	v_mfma_f32_16x16x32_fp8_fp8 v[40:43], a[96:97], a[24:25], v[40:43]// 0000000095C4: D3F30028 1CA23160
	ds_read_b128 a[128:131], v4 offset:19968                   // 0000000095CC: DBFE4E00 80000004
	ds_read_b128 a[132:135], v4 offset:20224                   // 0000000095D4: DBFE4F00 84000004
	v_mfma_f32_16x16x32_fp8_fp8 v[40:43], a[98:99], a[26:27], v[40:43]// 0000000095DC: D3F30028 1CA23562
	v_mfma_f32_16x16x32_fp8_fp8 v[40:43], a[100:101], a[28:29], v[40:43]// 0000000095E4: D3F30028 1CA23964
	v_mfma_f32_16x16x32_fp8_fp8 v[40:43], a[102:103], a[30:31], v[40:43]// 0000000095EC: D3F30028 1CA23D66
	s_waitcnt lgkmcnt(4)                                       // 0000000095F4: BF8CC47F
	s_barrier                                                  // 0000000095F8: BF8A0000
	v_mfma_f32_16x16x32_fp8_fp8 v[40:43], a[104:105], a[32:33], v[40:43]// 0000000095FC: D3F30028 1CA24168
	ds_read_b128 a[136:139], v4 offset:20480                   // 000000009604: DBFE5000 88000004
	ds_read_b128 a[140:143], v4 offset:20736                   // 00000000960C: DBFE5100 8C000004
	v_mfma_f32_16x16x32_fp8_fp8 v[40:43], a[106:107], a[34:35], v[40:43]// 000000009614: D3F30028 1CA2456A
	v_mfma_f32_16x16x32_fp8_fp8 v[44:47], a[108:109], a[0:1], 0// 00000000961C: D3F3002C 1A02016C
	v_perm_b32 v32, v22, v20, s52                              // 000000009624: D1ED0020 00D22916
	v_perm_b32 v33, v22, v20, s53                              // 00000000962C: D1ED0021 00D62916
	v_perm_b32 v34, v23, v21, s52                              // 000000009634: D1ED0022 00D22B17
	v_perm_b32 v35, v23, v21, s53                              // 00000000963C: D1ED0023 00D62B17
	v_perm_b32 v28, v34, v32, s54                              // 000000009644: D1ED001C 00DA4122
	v_perm_b32 v36, v34, v32, s55                              // 00000000964C: D1ED0024 00DE4122
	v_perm_b32 v30, v35, v33, s54                              // 000000009654: D1ED001E 00DA4323
	v_perm_b32 v38, v35, v33, s55                              // 00000000965C: D1ED0026 00DE4323
	v_mfma_f32_16x16x32_fp8_fp8 v[44:47], a[110:111], a[2:3], v[44:47]// 000000009664: D3F3002C 1CB2056E
	v_mfma_f32_16x16x32_fp8_fp8 v[44:47], a[112:113], a[4:5], v[44:47]// 00000000966C: D3F3002C 1CB20970
	v_perm_b32 v32, v26, v24, s52                              // 000000009674: D1ED0020 00D2311A
	v_perm_b32 v33, v26, v24, s53                              // 00000000967C: D1ED0021 00D6311A
	v_perm_b32 v34, v27, v25, s52                              // 000000009684: D1ED0022 00D2331B
	v_perm_b32 v35, v27, v25, s53                              // 00000000968C: D1ED0023 00D6331B
	v_perm_b32 v29, v34, v32, s54                              // 000000009694: D1ED001D 00DA4122
	v_perm_b32 v37, v34, v32, s55                              // 00000000969C: D1ED0025 00DE4122
	v_perm_b32 v31, v35, v33, s54                              // 0000000096A4: D1ED001F 00DA4323
	v_perm_b32 v39, v35, v33, s55                              // 0000000096AC: D1ED0027 00DE4323
	v_mfma_f32_16x16x32_fp8_fp8 v[44:47], a[114:115], a[6:7], v[44:47]// 0000000096B4: D3F3002C 1CB20D72
	v_mfma_f32_16x16x32_fp8_fp8 v[44:47], a[116:117], a[8:9], v[44:47]// 0000000096BC: D3F3002C 1CB21174
	ds_write_b128 v6, v[28:31] offset:45312                    // 0000000096C4: D9BEB100 00001C06
	v_mfma_f32_16x16x32_fp8_fp8 v[44:47], a[118:119], a[10:11], v[44:47]// 0000000096CC: D3F3002C 1CB21576
	s_waitcnt lgkmcnt(1)                                       // 0000000096D4: BF8CC17F
	v_mfma_f32_16x16x32_fp8_fp8 v[44:47], a[120:121], a[12:13], v[44:47]// 0000000096D8: D3F3002C 1CB21978
	ds_write_b128 v6, v[36:39] offset:46336                    // 0000000096E0: D9BEB500 00002406
	v_mfma_f32_16x16x32_fp8_fp8 v[44:47], a[122:123], a[14:15], v[44:47]// 0000000096E8: D3F3002C 1CB21D7A
	v_mfma_f32_16x16x32_fp8_fp8 v[44:47], a[124:125], a[16:17], v[44:47]// 0000000096F0: D3F3002C 1CB2217C
	v_mfma_f32_16x16x32_fp8_fp8 v[44:47], a[126:127], a[18:19], v[44:47]// 0000000096F8: D3F3002C 1CB2257E
	v_mfma_f32_16x16x32_fp8_fp8 v[44:47], a[128:129], a[20:21], v[44:47]// 000000009700: D3F3002C 1CB22980
	v_mfma_f32_16x16x32_fp8_fp8 v[44:47], a[130:131], a[22:23], v[44:47]// 000000009708: D3F3002C 1CB22D82
	v_mfma_f32_16x16x32_fp8_fp8 v[44:47], a[132:133], a[24:25], v[44:47]// 000000009710: D3F3002C 1CB23184
	v_mfma_f32_16x16x32_fp8_fp8 v[44:47], a[134:135], a[26:27], v[44:47]// 000000009718: D3F3002C 1CB23586
	v_mfma_f32_16x16x32_fp8_fp8 v[44:47], a[136:137], a[28:29], v[44:47]// 000000009720: D3F3002C 1CB23988
	v_mfma_f32_16x16x32_fp8_fp8 v[44:47], a[138:139], a[30:31], v[44:47]// 000000009728: D3F3002C 1CB23D8A
	v_mfma_f32_16x16x32_fp8_fp8 v[44:47], a[140:141], a[32:33], v[44:47]// 000000009730: D3F3002C 1CB2418C
	v_mfma_f32_16x16x32_fp8_fp8 v[44:47], a[142:143], a[34:35], v[44:47]// 000000009738: D3F3002C 1CB2458E
	s_waitcnt lgkmcnt(0)                                       // 000000009740: BF8CC07F
	s_barrier                                                  // 000000009744: BF8A0000
	v_mov_b32_e32 v25, 0xff800000                              // 000000009748: 7E3202FF FF800000
	s_and_b32 s56, s48, 0xff                                   // 000000009750: 8638FF30 000000FF
	v_mov_b32_e32 v24, s56                                     // 000000009758: 7E300238
	v_lshrrev_b32_e32 v20, 4, v0                               // 00000000975C: 20280084
	v_mul_i32_i24_e32 v20, 4, v20                              // 000000009760: 0C282884
	v_add_u32_e32 v21, 1, v20                                  // 000000009764: 682A2881
	v_add_u32_e32 v22, 2, v20                                  // 000000009768: 682C2882
	v_add_u32_e32 v23, 3, v20                                  // 00000000976C: 682E2883
	v_cmp_lt_u32_e64 s[38:39], v20, v24                        // 000000009770: D0C90026 00023114
	v_add_u32_e32 v20, 16, v20                                 // 000000009778: 68282890
	s_nop 0                                                    // 00000000977C: BF800000
	v_cndmask_b32_e64 v40, v25, v40, s[38:39]                  // 000000009780: D1000028 009A5119
	v_cmp_lt_u32_e64 s[38:39], v21, v24                        // 000000009788: D0C90026 00023115
	v_add_u32_e32 v21, 16, v21                                 // 000000009790: 682A2A90
	s_nop 0                                                    // 000000009794: BF800000
	v_cndmask_b32_e64 v41, v25, v41, s[38:39]                  // 000000009798: D1000029 009A5319
	v_cmp_lt_u32_e64 s[38:39], v22, v24                        // 0000000097A0: D0C90026 00023116
	v_add_u32_e32 v22, 16, v22                                 // 0000000097A8: 682C2C90
	s_nop 0                                                    // 0000000097AC: BF800000
	v_cndmask_b32_e64 v42, v25, v42, s[38:39]                  // 0000000097B0: D100002A 009A5519
	v_cmp_lt_u32_e64 s[38:39], v23, v24                        // 0000000097B8: D0C90026 00023117
	v_add_u32_e32 v23, 16, v23                                 // 0000000097C0: 682E2E90
	s_nop 0                                                    // 0000000097C4: BF800000
	v_cndmask_b32_e64 v43, v25, v43, s[38:39]                  // 0000000097C8: D100002B 009A5719
	v_cmp_lt_u32_e64 s[38:39], v20, v24                        // 0000000097D0: D0C90026 00023114
	v_add_u32_e32 v20, 16, v20                                 // 0000000097D8: 68282890
	s_nop 0                                                    // 0000000097DC: BF800000
	v_cndmask_b32_e64 v44, v25, v44, s[38:39]                  // 0000000097E0: D100002C 009A5919
	v_cmp_lt_u32_e64 s[38:39], v21, v24                        // 0000000097E8: D0C90026 00023115
	v_add_u32_e32 v21, 16, v21                                 // 0000000097F0: 682A2A90
	s_nop 0                                                    // 0000000097F4: BF800000
	v_cndmask_b32_e64 v45, v25, v45, s[38:39]                  // 0000000097F8: D100002D 009A5B19
	v_cmp_lt_u32_e64 s[38:39], v22, v24                        // 000000009800: D0C90026 00023116
	v_add_u32_e32 v22, 16, v22                                 // 000000009808: 682C2C90
	s_nop 0                                                    // 00000000980C: BF800000
	v_cndmask_b32_e64 v46, v25, v46, s[38:39]                  // 000000009810: D100002E 009A5D19
	v_cmp_lt_u32_e64 s[38:39], v23, v24                        // 000000009818: D0C90026 00023117
	v_add_u32_e32 v23, 16, v23                                 // 000000009820: 682E2E90
	s_nop 0                                                    // 000000009824: BF800000
	v_cndmask_b32_e64 v47, v25, v47, s[38:39]                  // 000000009828: D100002F 009A5F19
	v_mfma_f32_16x16x32_fp8_fp8 v[48:51], a[72:73], a[36:37], 0// 000000009830: D3F30030 1A024948
	v_mfma_f32_16x16x32_fp8_fp8 v[48:51], a[74:75], a[38:39], v[48:51]// 000000009838: D3F30030 1CC24D4A
	v_max3_f32 v24, v40, v41, v40                              // 000000009840: D1D30018 04A25328
	v_max3_f32 v24, v42, v43, v24                              // 000000009848: D1D30018 0462572A
	v_max3_f32 v24, v44, v45, v24                              // 000000009850: D1D30018 04625B2C
	v_max3_f32 v24, v46, v47, v24                              // 000000009858: D1D30018 04625F2E
	ds_write_b32 v3, v24 offset:53504                          // 000000009860: D81AD100 00001803
	v_mfma_f32_16x16x32_fp8_fp8 v[48:51], a[76:77], a[40:41], v[48:51]// 000000009868: D3F30030 1CC2514C
	v_mfma_f32_16x16x32_fp8_fp8 v[48:51], a[78:79], a[42:43], v[48:51]// 000000009870: D3F30030 1CC2554E
	v_mfma_f32_16x16x32_fp8_fp8 v[48:51], a[80:81], a[44:45], v[48:51]// 000000009878: D3F30030 1CC25950
	v_mfma_f32_16x16x32_fp8_fp8 v[48:51], a[82:83], a[46:47], v[48:51]// 000000009880: D3F30030 1CC25D52
	v_mfma_f32_16x16x32_fp8_fp8 v[48:51], a[84:85], a[48:49], v[48:51]// 000000009888: D3F30030 1CC26154
	s_waitcnt lgkmcnt(0)                                       // 000000009890: BF8CC07F
	ds_read_b32 v20, v2 offset:53504                           // 000000009894: D86CD100 14000002
	ds_read_b32 v21, v2 offset:53568                           // 00000000989C: D86CD140 15000002
	v_mfma_f32_16x16x32_fp8_fp8 v[48:51], a[86:87], a[50:51], v[48:51]// 0000000098A4: D3F30030 1CC26556
	ds_read_b32 v22, v2 offset:53632                           // 0000000098AC: D86CD180 16000002
	ds_read_b32 v23, v2 offset:53696                           // 0000000098B4: D86CD1C0 17000002
	v_mfma_f32_16x16x32_fp8_fp8 v[48:51], a[88:89], a[52:53], v[48:51]// 0000000098BC: D3F30030 1CC26958
	v_mfma_f32_16x16x32_fp8_fp8 v[48:51], a[90:91], a[54:55], v[48:51]// 0000000098C4: D3F30030 1CC26D5A
	v_mfma_f32_16x16x32_fp8_fp8 v[48:51], a[92:93], a[56:57], v[48:51]// 0000000098CC: D3F30030 1CC2715C
	v_mfma_f32_16x16x32_fp8_fp8 v[48:51], a[94:95], a[58:59], v[48:51]// 0000000098D4: D3F30030 1CC2755E
	v_mfma_f32_16x16x32_fp8_fp8 v[48:51], a[96:97], a[60:61], v[48:51]// 0000000098DC: D3F30030 1CC27960
	v_mfma_f32_16x16x32_fp8_fp8 v[48:51], a[98:99], a[62:63], v[48:51]// 0000000098E4: D3F30030 1CC27D62
	v_mfma_f32_16x16x32_fp8_fp8 v[48:51], a[100:101], a[64:65], v[48:51]// 0000000098EC: D3F30030 1CC28164
	s_waitcnt lgkmcnt(0)                                       // 0000000098F4: BF8CC07F
	v_max3_f32 v24, v20, v21, v24                              // 0000000098F8: D1D30018 04622B14
	v_max3_f32 v24, v22, v23, v24                              // 000000009900: D1D30018 04622F16
	v_mfma_f32_16x16x32_fp8_fp8 v[48:51], a[102:103], a[66:67], v[48:51]// 000000009908: D3F30030 1CC28566
	v_mfma_f32_16x16x32_fp8_fp8 v[48:51], a[104:105], a[68:69], v[48:51]// 000000009910: D3F30030 1CC28968
	v_mfma_f32_16x16x32_fp8_fp8 v[48:51], a[106:107], a[70:71], v[48:51]// 000000009918: D3F30030 1CC28D6A
	v_mfma_f32_16x16x32_fp8_fp8 v[52:55], a[108:109], a[36:37], 0// 000000009920: D3F30034 1A02496C
	v_mfma_f32_16x16x32_fp8_fp8 v[52:55], a[110:111], a[38:39], v[52:55]// 000000009928: D3F30034 1CD24D6E
	v_mfma_f32_16x16x32_fp8_fp8 v[52:55], a[112:113], a[40:41], v[52:55]// 000000009930: D3F30034 1CD25170
	ds_read_b128 a[72:75], v7 offset:37120                     // 000000009938: DBFE9100 48000007
	ds_read_b128 a[76:79], v7 offset:38144                     // 000000009940: DBFE9500 4C000007
	v_mfma_f32_16x16x32_fp8_fp8 v[52:55], a[114:115], a[42:43], v[52:55]// 000000009948: D3F30034 1CD25572
	v_mfma_f32_16x16x32_fp8_fp8 v[52:55], a[116:117], a[44:45], v[52:55]// 000000009950: D3F30034 1CD25974
	v_mfma_f32_16x16x32_fp8_fp8 v[52:55], a[118:119], a[46:47], v[52:55]// 000000009958: D3F30034 1CD25D76
	v_mfma_f32_16x16x32_fp8_fp8 v[52:55], a[120:121], a[48:49], v[52:55]// 000000009960: D3F30034 1CD26178
	ds_read_b128 a[80:83], v7 offset:39168                     // 000000009968: DBFE9900 50000007
	ds_read_b128 a[84:87], v7 offset:40192                     // 000000009970: DBFE9D00 54000007
	v_mfma_f32_16x16x32_fp8_fp8 v[52:55], a[122:123], a[50:51], v[52:55]// 000000009978: D3F30034 1CD2657A
	v_mfma_f32_16x16x32_fp8_fp8 v[52:55], a[124:125], a[52:53], v[52:55]// 000000009980: D3F30034 1CD2697C
	v_mfma_f32_16x16x32_fp8_fp8 v[52:55], a[126:127], a[54:55], v[52:55]// 000000009988: D3F30034 1CD26D7E
	v_mfma_f32_16x16x32_fp8_fp8 v[52:55], a[128:129], a[56:57], v[52:55]// 000000009990: D3F30034 1CD27180
	ds_read_b128 a[88:91], v7 offset:41216                     // 000000009998: DBFEA100 58000007
	ds_read_b128 a[92:95], v7 offset:42240                     // 0000000099A0: DBFEA500 5C000007
	v_mfma_f32_16x16x32_fp8_fp8 v[52:55], a[130:131], a[58:59], v[52:55]// 0000000099A8: D3F30034 1CD27582
	v_mfma_f32_16x16x32_fp8_fp8 v[52:55], a[132:133], a[60:61], v[52:55]// 0000000099B0: D3F30034 1CD27984
	v_mfma_f32_16x16x32_fp8_fp8 v[52:55], a[134:135], a[62:63], v[52:55]// 0000000099B8: D3F30034 1CD27D86
	v_mfma_f32_16x16x32_fp8_fp8 v[52:55], a[136:137], a[64:65], v[52:55]// 0000000099C0: D3F30034 1CD28188
	ds_read_b128 a[96:99], v7 offset:43264                     // 0000000099C8: DBFEA900 60000007
	ds_read_b128 a[100:103], v7 offset:44288                   // 0000000099D0: DBFEAD00 64000007
	v_mfma_f32_16x16x32_fp8_fp8 v[52:55], a[138:139], a[66:67], v[52:55]// 0000000099D8: D3F30034 1CD2858A
	v_mfma_f32_16x16x32_fp8_fp8 v[52:55], a[140:141], a[68:69], v[52:55]// 0000000099E0: D3F30034 1CD2898C
	v_mfma_f32_16x16x32_fp8_fp8 v[52:55], a[142:143], a[70:71], v[52:55]// 0000000099E8: D3F30034 1CD28D8E
	v_mov_b32_e32 v25, 0xff7fffff                              // 0000000099F0: 7E3202FF FF7FFFFF
	v_cmp_eq_u32_e64 s[38:39], v25, v12                        // 0000000099F8: D0CA0026 00021919
	v_max_f32_e32 v20, v24, v12                                // 000000009A00: 16281918
	v_sub_f32_e32 v16, v12, v20                                // 000000009A04: 0420290C
	v_cndmask_b32_e64 v16, v16, 0, s[38:39]                    // 000000009A08: D1000010 00990110
	v_mov_b32_e32 v12, v20                                     // 000000009A10: 7E180314
	v_mul_f32_e32 v21, s5, v20                                 // 000000009A14: 0A2A2805
	v_mul_f32_e32 v16, s5, v16                                 // 000000009A18: 0A202005
	v_exp_f32_e32 v16, v16                                     // 000000009A1C: 7E204110
	v_fma_f32 v40, v40, s5, -v21                               // 000000009A20: D1CB0028 84540B28
	v_fma_f32 v41, v41, s5, -v21                               // 000000009A28: D1CB0029 84540B29
	v_fma_f32 v42, v42, s5, -v21                               // 000000009A30: D1CB002A 84540B2A
	v_fma_f32 v43, v43, s5, -v21                               // 000000009A38: D1CB002B 84540B2B
	v_fma_f32 v44, v44, s5, -v21                               // 000000009A40: D1CB002C 84540B2C
	v_fma_f32 v45, v45, s5, -v21                               // 000000009A48: D1CB002D 84540B2D
	v_fma_f32 v46, v46, s5, -v21                               // 000000009A50: D1CB002E 84540B2E
	v_fma_f32 v47, v47, s5, -v21                               // 000000009A58: D1CB002F 84540B2F
	v_exp_f32_e32 v40, v40                                     // 000000009A60: 7E504128
	v_exp_f32_e32 v41, v41                                     // 000000009A64: 7E524129
	v_exp_f32_e32 v42, v42                                     // 000000009A68: 7E54412A
	v_exp_f32_e32 v43, v43                                     // 000000009A6C: 7E56412B
	v_exp_f32_e32 v44, v44                                     // 000000009A70: 7E58412C
	v_exp_f32_e32 v45, v45                                     // 000000009A74: 7E5A412D
	v_exp_f32_e32 v46, v46                                     // 000000009A78: 7E5C412E
	v_exp_f32_e32 v47, v47                                     // 000000009A7C: 7E5E412F
	v_mul_f32_e32 v14, v16, v14                                // 000000009A80: 0A1C1D10
	v_mov_b32_e32 v22, v40                                     // 000000009A84: 7E2C0328
	v_add_f32_e32 v22, v41, v22                                // 000000009A88: 022C2D29
	v_add_f32_e32 v22, v42, v22                                // 000000009A8C: 022C2D2A
	v_add_f32_e32 v22, v43, v22                                // 000000009A90: 022C2D2B
	v_add_f32_e32 v22, v44, v22                                // 000000009A94: 022C2D2C
	v_add_f32_e32 v22, v45, v22                                // 000000009A98: 022C2D2D
	v_add_f32_e32 v22, v46, v22                                // 000000009A9C: 022C2D2E
	v_add_f32_e32 v22, v47, v22                                // 000000009AA0: 022C2D2F
	v_add_f32_e32 v14, v22, v14                                // 000000009AA4: 021C1D16
	v_cvt_pk_fp8_f32 v40, v40, v41                             // 000000009AA8: D2A20028 00025328
	v_cvt_pk_fp8_f32 v40, v42, v43 op_sel:[0,0,1]              // 000000009AB0: D2A24028 0002572A
	v_cvt_pk_fp8_f32 v41, v44, v45                             // 000000009AB8: D2A20029 00025B2C
	v_cvt_pk_fp8_f32 v41, v46, v47 op_sel:[0,0,1]              // 000000009AC0: D2A24029 00025F2E
	s_nop 0                                                    // 000000009AC8: BF800000
	v_mov_b32_e32 v22, v16                                     // 000000009ACC: 7E2C0310
	v_mov_b32_e32 v23, v16                                     // 000000009AD0: 7E2E0310
	v_pk_mul_f32 v[56:57], v[22:23], v[56:57]                  // 000000009AD4: D3B14038 18027116
	v_pk_mul_f32 v[58:59], v[22:23], v[58:59]                  // 000000009ADC: D3B1403A 18027516
	v_pk_mul_f32 v[60:61], v[22:23], v[60:61]                  // 000000009AE4: D3B1403C 18027916
	v_pk_mul_f32 v[62:63], v[22:23], v[62:63]                  // 000000009AEC: D3B1403E 18027D16
	v_pk_mul_f32 v[64:65], v[22:23], v[64:65]                  // 000000009AF4: D3B14040 18028116
	v_pk_mul_f32 v[66:67], v[22:23], v[66:67]                  // 000000009AFC: D3B14042 18028516
	v_pk_mul_f32 v[68:69], v[22:23], v[68:69]                  // 000000009B04: D3B14044 18028916
	v_pk_mul_f32 v[70:71], v[22:23], v[70:71]                  // 000000009B0C: D3B14046 18028D16
	v_pk_mul_f32 v[72:73], v[22:23], v[72:73]                  // 000000009B14: D3B14048 18029116
	v_pk_mul_f32 v[74:75], v[22:23], v[74:75]                  // 000000009B1C: D3B1404A 18029516
	v_pk_mul_f32 v[76:77], v[22:23], v[76:77]                  // 000000009B24: D3B1404C 18029916
	v_pk_mul_f32 v[78:79], v[22:23], v[78:79]                  // 000000009B2C: D3B1404E 18029D16
	v_pk_mul_f32 v[80:81], v[22:23], v[80:81]                  // 000000009B34: D3B14050 1802A116
	v_pk_mul_f32 v[82:83], v[22:23], v[82:83]                  // 000000009B3C: D3B14052 1802A516
	v_pk_mul_f32 v[84:85], v[22:23], v[84:85]                  // 000000009B44: D3B14054 1802A916
	v_pk_mul_f32 v[86:87], v[22:23], v[86:87]                  // 000000009B4C: D3B14056 1802AD16
	v_pk_mul_f32 v[88:89], v[22:23], v[88:89]                  // 000000009B54: D3B14058 1802B116
	v_pk_mul_f32 v[90:91], v[22:23], v[90:91]                  // 000000009B5C: D3B1405A 1802B516
	v_pk_mul_f32 v[92:93], v[22:23], v[92:93]                  // 000000009B64: D3B1405C 1802B916
	v_pk_mul_f32 v[94:95], v[22:23], v[94:95]                  // 000000009B6C: D3B1405E 1802BD16
	v_pk_mul_f32 v[96:97], v[22:23], v[96:97]                  // 000000009B74: D3B14060 1802C116
	v_pk_mul_f32 v[98:99], v[22:23], v[98:99]                  // 000000009B7C: D3B14062 1802C516
	v_pk_mul_f32 v[100:101], v[22:23], v[100:101]              // 000000009B84: D3B14064 1802C916
	v_pk_mul_f32 v[102:103], v[22:23], v[102:103]              // 000000009B8C: D3B14066 1802CD16
	v_pk_mul_f32 v[104:105], v[22:23], v[104:105]              // 000000009B94: D3B14068 1802D116
	v_pk_mul_f32 v[106:107], v[22:23], v[106:107]              // 000000009B9C: D3B1406A 1802D516
	v_pk_mul_f32 v[108:109], v[22:23], v[108:109]              // 000000009BA4: D3B1406C 1802D916
	v_pk_mul_f32 v[110:111], v[22:23], v[110:111]              // 000000009BAC: D3B1406E 1802DD16
	v_pk_mul_f32 v[112:113], v[22:23], v[112:113]              // 000000009BB4: D3B14070 1802E116
	v_pk_mul_f32 v[114:115], v[22:23], v[114:115]              // 000000009BBC: D3B14072 1802E516
	v_pk_mul_f32 v[116:117], v[22:23], v[116:117]              // 000000009BC4: D3B14074 1802E916
	v_pk_mul_f32 v[118:119], v[22:23], v[118:119]              // 000000009BCC: D3B14076 1802ED16
	v_pk_mul_f32 v[120:121], v[22:23], v[120:121]              // 000000009BD4: D3B14078 1802F116
	v_pk_mul_f32 v[122:123], v[22:23], v[122:123]              // 000000009BDC: D3B1407A 1802F516
	v_pk_mul_f32 v[124:125], v[22:23], v[124:125]              // 000000009BE4: D3B1407C 1802F916
	v_pk_mul_f32 v[126:127], v[22:23], v[126:127]              // 000000009BEC: D3B1407E 1802FD16
	v_pk_mul_f32 v[128:129], v[22:23], v[128:129]              // 000000009BF4: D3B14080 18030116
	v_pk_mul_f32 v[130:131], v[22:23], v[130:131]              // 000000009BFC: D3B14082 18030516
	v_pk_mul_f32 v[132:133], v[22:23], v[132:133]              // 000000009C04: D3B14084 18030916
	v_pk_mul_f32 v[134:135], v[22:23], v[134:135]              // 000000009C0C: D3B14086 18030D16
	v_pk_mul_f32 v[136:137], v[22:23], v[136:137]              // 000000009C14: D3B14088 18031116
	v_pk_mul_f32 v[138:139], v[22:23], v[138:139]              // 000000009C1C: D3B1408A 18031516
	v_pk_mul_f32 v[140:141], v[22:23], v[140:141]              // 000000009C24: D3B1408C 18031916
	v_pk_mul_f32 v[142:143], v[22:23], v[142:143]              // 000000009C2C: D3B1408E 18031D16
	v_pk_mul_f32 v[144:145], v[22:23], v[144:145]              // 000000009C34: D3B14090 18032116
	v_pk_mul_f32 v[146:147], v[22:23], v[146:147]              // 000000009C3C: D3B14092 18032516
	v_pk_mul_f32 v[148:149], v[22:23], v[148:149]              // 000000009C44: D3B14094 18032916
	v_pk_mul_f32 v[150:151], v[22:23], v[150:151]              // 000000009C4C: D3B14096 18032D16
	v_pk_mul_f32 v[152:153], v[22:23], v[152:153]              // 000000009C54: D3B14098 18033116
	v_pk_mul_f32 v[154:155], v[22:23], v[154:155]              // 000000009C5C: D3B1409A 18033516
	v_accvgpr_read_b32 v20, a144                               // 000000009C64: D3D84014 18000190
	v_accvgpr_read_b32 v21, a145                               // 000000009C6C: D3D84015 18000191
	v_pk_mul_f32 v[20:21], v[22:23], v[20:21]                  // 000000009C74: D3B14014 18022916
	v_accvgpr_write_b32 a144, v20                              // 000000009C7C: D3D94090 18000114
	v_accvgpr_write_b32 a145, v21                              // 000000009C84: D3D94091 18000115
	v_accvgpr_read_b32 v20, a146                               // 000000009C8C: D3D84014 18000192
	v_accvgpr_read_b32 v21, a147                               // 000000009C94: D3D84015 18000193
	v_pk_mul_f32 v[20:21], v[22:23], v[20:21]                  // 000000009C9C: D3B14014 18022916
	v_accvgpr_write_b32 a146, v20                              // 000000009CA4: D3D94092 18000114
	v_accvgpr_write_b32 a147, v21                              // 000000009CAC: D3D94093 18000115
	v_accvgpr_read_b32 v20, a148                               // 000000009CB4: D3D84014 18000194
	v_accvgpr_read_b32 v21, a149                               // 000000009CBC: D3D84015 18000195
	v_pk_mul_f32 v[20:21], v[22:23], v[20:21]                  // 000000009CC4: D3B14014 18022916
	v_accvgpr_write_b32 a148, v20                              // 000000009CCC: D3D94094 18000114
	v_accvgpr_write_b32 a149, v21                              // 000000009CD4: D3D94095 18000115
	v_accvgpr_read_b32 v20, a150                               // 000000009CDC: D3D84014 18000196
	v_accvgpr_read_b32 v21, a151                               // 000000009CE4: D3D84015 18000197
	v_pk_mul_f32 v[20:21], v[22:23], v[20:21]                  // 000000009CEC: D3B14014 18022916
	v_accvgpr_write_b32 a150, v20                              // 000000009CF4: D3D94096 18000114
	v_accvgpr_write_b32 a151, v21                              // 000000009CFC: D3D94097 18000115
	v_accvgpr_read_b32 v20, a152                               // 000000009D04: D3D84014 18000198
	v_accvgpr_read_b32 v21, a153                               // 000000009D0C: D3D84015 18000199
	v_pk_mul_f32 v[20:21], v[22:23], v[20:21]                  // 000000009D14: D3B14014 18022916
	v_accvgpr_write_b32 a152, v20                              // 000000009D1C: D3D94098 18000114
	v_accvgpr_write_b32 a153, v21                              // 000000009D24: D3D94099 18000115
	v_accvgpr_read_b32 v20, a154                               // 000000009D2C: D3D84014 1800019A
	v_accvgpr_read_b32 v21, a155                               // 000000009D34: D3D84015 1800019B
	v_pk_mul_f32 v[20:21], v[22:23], v[20:21]                  // 000000009D3C: D3B14014 18022916
	v_accvgpr_write_b32 a154, v20                              // 000000009D44: D3D9409A 18000114
	v_accvgpr_write_b32 a155, v21                              // 000000009D4C: D3D9409B 18000115
	v_accvgpr_read_b32 v20, a156                               // 000000009D54: D3D84014 1800019C
	v_accvgpr_read_b32 v21, a157                               // 000000009D5C: D3D84015 1800019D
	v_pk_mul_f32 v[20:21], v[22:23], v[20:21]                  // 000000009D64: D3B14014 18022916
	v_accvgpr_write_b32 a156, v20                              // 000000009D6C: D3D9409C 18000114
	v_accvgpr_write_b32 a157, v21                              // 000000009D74: D3D9409D 18000115
	v_accvgpr_read_b32 v20, a158                               // 000000009D7C: D3D84014 1800019E
	v_accvgpr_read_b32 v21, a159                               // 000000009D84: D3D84015 1800019F
	v_pk_mul_f32 v[20:21], v[22:23], v[20:21]                  // 000000009D8C: D3B14014 18022916
	v_accvgpr_write_b32 a158, v20                              // 000000009D94: D3D9409E 18000114
	v_accvgpr_write_b32 a159, v21                              // 000000009D9C: D3D9409F 18000115
	v_accvgpr_read_b32 v20, a160                               // 000000009DA4: D3D84014 180001A0
	v_accvgpr_read_b32 v21, a161                               // 000000009DAC: D3D84015 180001A1
	v_pk_mul_f32 v[20:21], v[22:23], v[20:21]                  // 000000009DB4: D3B14014 18022916
	v_accvgpr_write_b32 a160, v20                              // 000000009DBC: D3D940A0 18000114
	v_accvgpr_write_b32 a161, v21                              // 000000009DC4: D3D940A1 18000115
	v_accvgpr_read_b32 v20, a162                               // 000000009DCC: D3D84014 180001A2
	v_accvgpr_read_b32 v21, a163                               // 000000009DD4: D3D84015 180001A3
	v_pk_mul_f32 v[20:21], v[22:23], v[20:21]                  // 000000009DDC: D3B14014 18022916
	v_accvgpr_write_b32 a162, v20                              // 000000009DE4: D3D940A2 18000114
	v_accvgpr_write_b32 a163, v21                              // 000000009DEC: D3D940A3 18000115
	v_accvgpr_read_b32 v20, a164                               // 000000009DF4: D3D84014 180001A4
	v_accvgpr_read_b32 v21, a165                               // 000000009DFC: D3D84015 180001A5
	v_pk_mul_f32 v[20:21], v[22:23], v[20:21]                  // 000000009E04: D3B14014 18022916
	v_accvgpr_write_b32 a164, v20                              // 000000009E0C: D3D940A4 18000114
	v_accvgpr_write_b32 a165, v21                              // 000000009E14: D3D940A5 18000115
	v_accvgpr_read_b32 v20, a166                               // 000000009E1C: D3D84014 180001A6
	v_accvgpr_read_b32 v21, a167                               // 000000009E24: D3D84015 180001A7
	v_pk_mul_f32 v[20:21], v[22:23], v[20:21]                  // 000000009E2C: D3B14014 18022916
	v_accvgpr_write_b32 a166, v20                              // 000000009E34: D3D940A6 18000114
	v_accvgpr_write_b32 a167, v21                              // 000000009E3C: D3D940A7 18000115
	v_accvgpr_read_b32 v20, a168                               // 000000009E44: D3D84014 180001A8
	v_accvgpr_read_b32 v21, a169                               // 000000009E4C: D3D84015 180001A9
	v_pk_mul_f32 v[20:21], v[22:23], v[20:21]                  // 000000009E54: D3B14014 18022916
	v_accvgpr_write_b32 a168, v20                              // 000000009E5C: D3D940A8 18000114
	v_accvgpr_write_b32 a169, v21                              // 000000009E64: D3D940A9 18000115
	v_accvgpr_read_b32 v20, a170                               // 000000009E6C: D3D84014 180001AA
	v_accvgpr_read_b32 v21, a171                               // 000000009E74: D3D84015 180001AB
	v_pk_mul_f32 v[20:21], v[22:23], v[20:21]                  // 000000009E7C: D3B14014 18022916
	v_accvgpr_write_b32 a170, v20                              // 000000009E84: D3D940AA 18000114
	v_accvgpr_write_b32 a171, v21                              // 000000009E8C: D3D940AB 18000115
	s_waitcnt lgkmcnt(0)                                       // 000000009E94: BF8CC07F
	v_mov_b32_e32 v25, 0xff800000                              // 000000009E98: 7E3202FF FF800000
	s_and_b32 s56, s48, 0xff                                   // 000000009EA0: 8638FF30 000000FF
	v_mov_b32_e32 v24, s56                                     // 000000009EA8: 7E300238
	v_lshrrev_b32_e32 v20, 4, v0                               // 000000009EAC: 20280084
	v_mul_i32_i24_e32 v20, 4, v20                              // 000000009EB0: 0C282884
	v_add_u32_e32 v21, 1, v20                                  // 000000009EB4: 682A2881
	v_add_u32_e32 v22, 2, v20                                  // 000000009EB8: 682C2882
	v_add_u32_e32 v23, 3, v20                                  // 000000009EBC: 682E2883
	v_cmp_lt_u32_e64 s[38:39], v20, v24                        // 000000009EC0: D0C90026 00023114
	v_add_u32_e32 v20, 16, v20                                 // 000000009EC8: 68282890
	s_nop 0                                                    // 000000009ECC: BF800000
	v_cndmask_b32_e64 v48, v25, v48, s[38:39]                  // 000000009ED0: D1000030 009A6119
	v_cmp_lt_u32_e64 s[38:39], v21, v24                        // 000000009ED8: D0C90026 00023115
	v_add_u32_e32 v21, 16, v21                                 // 000000009EE0: 682A2A90
	s_nop 0                                                    // 000000009EE4: BF800000
	v_cndmask_b32_e64 v49, v25, v49, s[38:39]                  // 000000009EE8: D1000031 009A6319
	v_cmp_lt_u32_e64 s[38:39], v22, v24                        // 000000009EF0: D0C90026 00023116
	v_add_u32_e32 v22, 16, v22                                 // 000000009EF8: 682C2C90
	s_nop 0                                                    // 000000009EFC: BF800000
	v_cndmask_b32_e64 v50, v25, v50, s[38:39]                  // 000000009F00: D1000032 009A6519
	v_cmp_lt_u32_e64 s[38:39], v23, v24                        // 000000009F08: D0C90026 00023117
	v_add_u32_e32 v23, 16, v23                                 // 000000009F10: 682E2E90
	s_nop 0                                                    // 000000009F14: BF800000
	v_cndmask_b32_e64 v51, v25, v51, s[38:39]                  // 000000009F18: D1000033 009A6719
	v_cmp_lt_u32_e64 s[38:39], v20, v24                        // 000000009F20: D0C90026 00023114
	v_add_u32_e32 v20, 16, v20                                 // 000000009F28: 68282890
	s_nop 0                                                    // 000000009F2C: BF800000
	v_cndmask_b32_e64 v52, v25, v52, s[38:39]                  // 000000009F30: D1000034 009A6919
	v_cmp_lt_u32_e64 s[38:39], v21, v24                        // 000000009F38: D0C90026 00023115
	v_add_u32_e32 v21, 16, v21                                 // 000000009F40: 682A2A90
	s_nop 0                                                    // 000000009F44: BF800000
	v_cndmask_b32_e64 v53, v25, v53, s[38:39]                  // 000000009F48: D1000035 009A6B19
	v_cmp_lt_u32_e64 s[38:39], v22, v24                        // 000000009F50: D0C90026 00023116
	v_add_u32_e32 v22, 16, v22                                 // 000000009F58: 682C2C90
	s_nop 0                                                    // 000000009F5C: BF800000
	v_cndmask_b32_e64 v54, v25, v54, s[38:39]                  // 000000009F60: D1000036 009A6D19
	v_cmp_lt_u32_e64 s[38:39], v23, v24                        // 000000009F68: D0C90026 00023117
	v_add_u32_e32 v23, 16, v23                                 // 000000009F70: 682E2E90
	s_nop 0                                                    // 000000009F74: BF800000
	v_cndmask_b32_e64 v55, v25, v55, s[38:39]                  // 000000009F78: D1000037 009A6F19
	v_mfma_f32_16x16x32_fp8_fp8 v[56:59], a[72:73], v[40:41], v[56:59]// 000000009F80: D3F30038 0CE25148
	ds_read_b128 a[104:107], v7 offset:45312                   // 000000009F88: DBFEB100 68000007
	ds_read_b128 a[108:111], v7 offset:46336                   // 000000009F90: DBFEB500 6C000007
	v_mfma_f32_16x16x32_fp8_fp8 v[60:63], a[74:75], v[40:41], v[60:63]// 000000009F98: D3F3003C 0CF2514A
	v_mfma_f32_16x16x32_fp8_fp8 v[64:67], a[76:77], v[40:41], v[64:67]// 000000009FA0: D3F30040 0D02514C
	v_mfma_f32_16x16x32_fp8_fp8 v[68:71], a[78:79], v[40:41], v[68:71]// 000000009FA8: D3F30044 0D12514E
	v_mfma_f32_16x16x32_fp8_fp8 v[72:75], a[80:81], v[40:41], v[72:75]// 000000009FB0: D3F30048 0D225150
	ds_read_b128 a[112:115], v7 offset:47360                   // 000000009FB8: DBFEB900 70000007
	ds_read_b128 a[116:119], v7 offset:48384                   // 000000009FC0: DBFEBD00 74000007
	v_mfma_f32_16x16x32_fp8_fp8 v[76:79], a[82:83], v[40:41], v[76:79]// 000000009FC8: D3F3004C 0D325152
	v_mfma_f32_16x16x32_fp8_fp8 v[80:83], a[84:85], v[40:41], v[80:83]// 000000009FD0: D3F30050 0D425154
	v_mfma_f32_16x16x32_fp8_fp8 v[84:87], a[86:87], v[40:41], v[84:87]// 000000009FD8: D3F30054 0D525156
	v_mfma_f32_16x16x32_fp8_fp8 v[88:91], a[88:89], v[40:41], v[88:91]// 000000009FE0: D3F30058 0D625158
	ds_read_b128 a[120:123], v7 offset:49408                   // 000000009FE8: DBFEC100 78000007
	ds_read_b128 a[124:127], v7 offset:50432                   // 000000009FF0: DBFEC500 7C000007
	v_mfma_f32_16x16x32_fp8_fp8 v[92:95], a[90:91], v[40:41], v[92:95]// 000000009FF8: D3F3005C 0D72515A
	v_mfma_f32_16x16x32_fp8_fp8 v[96:99], a[92:93], v[40:41], v[96:99]// 00000000A000: D3F30060 0D82515C
	v_mfma_f32_16x16x32_fp8_fp8 v[100:103], a[94:95], v[40:41], v[100:103]// 00000000A008: D3F30064 0D92515E
	v_mfma_f32_16x16x32_fp8_fp8 v[104:107], a[96:97], v[40:41], v[104:107]// 00000000A010: D3F30068 0DA25160
	ds_read_b128 a[128:131], v7 offset:51456                   // 00000000A018: DBFEC900 80000007
	ds_read_b128 a[132:135], v7 offset:52480                   // 00000000A020: DBFECD00 84000007
	v_mfma_f32_16x16x32_fp8_fp8 v[108:111], a[98:99], v[40:41], v[108:111]// 00000000A028: D3F3006C 0DB25162
	v_mfma_f32_16x16x32_fp8_fp8 v[112:115], a[100:101], v[40:41], v[112:115]// 00000000A030: D3F30070 0DC25164
	v_mfma_f32_16x16x32_fp8_fp8 v[116:119], a[102:103], v[40:41], v[116:119]// 00000000A038: D3F30074 0DD25166
	s_waitcnt lgkmcnt(4)                                       // 00000000A040: BF8CC47F
	v_mfma_f32_16x16x32_fp8_fp8 v[120:123], a[104:105], v[40:41], v[120:123]// 00000000A044: D3F30078 0DE25168
	v_max3_f32 v24, v48, v49, v48                              // 00000000A04C: D1D30018 04C26330
	v_max3_f32 v24, v50, v51, v24                              // 00000000A054: D1D30018 04626732
	v_max3_f32 v24, v52, v53, v24                              // 00000000A05C: D1D30018 04626B34
	v_max3_f32 v24, v54, v55, v24                              // 00000000A064: D1D30018 04626F36
	ds_write_b32 v3, v24 offset:54528                          // 00000000A06C: D81AD500 00001803
	v_mfma_f32_16x16x32_fp8_fp8 v[124:127], a[106:107], v[40:41], v[124:127]// 00000000A074: D3F3007C 0DF2516A
	v_mfma_f32_16x16x32_fp8_fp8 v[128:131], a[108:109], v[40:41], v[128:131]// 00000000A07C: D3F30080 0E02516C
	v_mfma_f32_16x16x32_fp8_fp8 v[132:135], a[110:111], v[40:41], v[132:135]// 00000000A084: D3F30084 0E12516E
	v_mfma_f32_16x16x32_fp8_fp8 v[136:139], a[112:113], v[40:41], v[136:139]// 00000000A08C: D3F30088 0E225170
	v_mfma_f32_16x16x32_fp8_fp8 v[140:143], a[114:115], v[40:41], v[140:143]// 00000000A094: D3F3008C 0E325172
	v_mfma_f32_16x16x32_fp8_fp8 v[144:147], a[116:117], v[40:41], v[144:147]// 00000000A09C: D3F30090 0E425174
	v_mfma_f32_16x16x32_fp8_fp8 v[148:151], a[118:119], v[40:41], v[148:151]// 00000000A0A4: D3F30094 0E525176
	s_waitcnt lgkmcnt(0)                                       // 00000000A0AC: BF8CC07F
	v_mfma_f32_16x16x32_fp8_fp8 v[152:155], a[120:121], v[40:41], v[152:155]// 00000000A0B0: D3F30098 0E625178
	s_waitcnt lgkmcnt(0)                                       // 00000000A0B8: BF8CC07F
	ds_read_b32 v20, v2 offset:54528                           // 00000000A0BC: D86CD500 14000002
	ds_read_b32 v21, v2 offset:54592                           // 00000000A0C4: D86CD540 15000002
	v_mfma_f32_16x16x32_fp8_fp8 a[144:147], a[122:123], v[40:41], a[144:147]// 00000000A0CC: D3F38090 0E42517A
	ds_read_b32 v22, v2 offset:54656                           // 00000000A0D4: D86CD580 16000002
	ds_read_b32 v23, v2 offset:54720                           // 00000000A0DC: D86CD5C0 17000002
	v_mfma_f32_16x16x32_fp8_fp8 a[148:151], a[124:125], v[40:41], a[148:151]// 00000000A0E4: D3F38094 0E52517C
	v_mfma_f32_16x16x32_fp8_fp8 a[152:155], a[126:127], v[40:41], a[152:155]// 00000000A0EC: D3F38098 0E62517E
	v_mfma_f32_16x16x32_fp8_fp8 a[156:159], a[128:129], v[40:41], a[156:159]// 00000000A0F4: D3F3809C 0E725180
	v_mfma_f32_16x16x32_fp8_fp8 a[160:163], a[130:131], v[40:41], a[160:163]// 00000000A0FC: D3F380A0 0E825182
	v_mfma_f32_16x16x32_fp8_fp8 a[164:167], a[132:133], v[40:41], a[164:167]// 00000000A104: D3F380A4 0E925184
	v_mfma_f32_16x16x32_fp8_fp8 a[168:171], a[134:135], v[40:41], a[168:171]// 00000000A10C: D3F380A8 0EA25186
	s_waitcnt lgkmcnt(0)                                       // 00000000A114: BF8CC07F
	v_max3_f32 v24, v20, v21, v24                              // 00000000A118: D1D30018 04622B14
	v_max3_f32 v24, v22, v23, v24                              // 00000000A120: D1D30018 04622F16
	v_mov_b32_e32 v25, 0xff7fffff                              // 00000000A128: 7E3202FF FF7FFFFF
	v_cmp_eq_u32_e64 s[38:39], v25, v13                        // 00000000A130: D0CA0026 00021B19
	v_max_f32_e32 v20, v24, v13                                // 00000000A138: 16281B18
	v_sub_f32_e32 v17, v13, v20                                // 00000000A13C: 0422290D
	v_cndmask_b32_e64 v17, v17, 0, s[38:39]                    // 00000000A140: D1000011 00990111
	v_mov_b32_e32 v13, v20                                     // 00000000A148: 7E1A0314
	v_mul_f32_e32 v21, s5, v20                                 // 00000000A14C: 0A2A2805
	v_mul_f32_e32 v17, s5, v17                                 // 00000000A150: 0A222205
	v_exp_f32_e32 v17, v17                                     // 00000000A154: 7E224111
	v_fma_f32 v48, v48, s5, -v21                               // 00000000A158: D1CB0030 84540B30
	v_fma_f32 v49, v49, s5, -v21                               // 00000000A160: D1CB0031 84540B31
	v_fma_f32 v50, v50, s5, -v21                               // 00000000A168: D1CB0032 84540B32
	v_fma_f32 v51, v51, s5, -v21                               // 00000000A170: D1CB0033 84540B33
	v_fma_f32 v52, v52, s5, -v21                               // 00000000A178: D1CB0034 84540B34
	v_fma_f32 v53, v53, s5, -v21                               // 00000000A180: D1CB0035 84540B35
	v_fma_f32 v54, v54, s5, -v21                               // 00000000A188: D1CB0036 84540B36
	v_fma_f32 v55, v55, s5, -v21                               // 00000000A190: D1CB0037 84540B37
	v_exp_f32_e32 v48, v48                                     // 00000000A198: 7E604130
	v_exp_f32_e32 v49, v49                                     // 00000000A19C: 7E624131
	v_exp_f32_e32 v50, v50                                     // 00000000A1A0: 7E644132
	v_exp_f32_e32 v51, v51                                     // 00000000A1A4: 7E664133
	v_exp_f32_e32 v52, v52                                     // 00000000A1A8: 7E684134
	v_exp_f32_e32 v53, v53                                     // 00000000A1AC: 7E6A4135
	v_exp_f32_e32 v54, v54                                     // 00000000A1B0: 7E6C4136
	v_exp_f32_e32 v55, v55                                     // 00000000A1B4: 7E6E4137
	v_mul_f32_e32 v15, v17, v15                                // 00000000A1B8: 0A1E1F11
	v_mov_b32_e32 v22, v48                                     // 00000000A1BC: 7E2C0330
	v_add_f32_e32 v22, v49, v22                                // 00000000A1C0: 022C2D31
	v_add_f32_e32 v22, v50, v22                                // 00000000A1C4: 022C2D32
	v_add_f32_e32 v22, v51, v22                                // 00000000A1C8: 022C2D33
	v_add_f32_e32 v22, v52, v22                                // 00000000A1CC: 022C2D34
	v_add_f32_e32 v22, v53, v22                                // 00000000A1D0: 022C2D35
	v_add_f32_e32 v22, v54, v22                                // 00000000A1D4: 022C2D36
	v_add_f32_e32 v22, v55, v22                                // 00000000A1D8: 022C2D37
	v_add_f32_e32 v15, v22, v15                                // 00000000A1DC: 021E1F16
	v_cvt_pk_fp8_f32 v42, v48, v49                             // 00000000A1E0: D2A2002A 00026330
	v_cvt_pk_fp8_f32 v42, v50, v51 op_sel:[0,0,1]              // 00000000A1E8: D2A2402A 00026732
	v_cvt_pk_fp8_f32 v43, v52, v53                             // 00000000A1F0: D2A2002B 00026B34
	v_cvt_pk_fp8_f32 v43, v54, v55 op_sel:[0,0,1]              // 00000000A1F8: D2A2402B 00026F36
	s_nop 0                                                    // 00000000A200: BF800000
	v_mov_b32_e32 v22, v17                                     // 00000000A204: 7E2C0311
	v_mov_b32_e32 v23, v17                                     // 00000000A208: 7E2E0311
	v_pk_mul_f32 v[156:157], v[22:23], v[156:157]              // 00000000A20C: D3B1409C 18033916
	v_pk_mul_f32 v[158:159], v[22:23], v[158:159]              // 00000000A214: D3B1409E 18033D16
	v_pk_mul_f32 v[160:161], v[22:23], v[160:161]              // 00000000A21C: D3B140A0 18034116
	v_pk_mul_f32 v[162:163], v[22:23], v[162:163]              // 00000000A224: D3B140A2 18034516
	v_pk_mul_f32 v[164:165], v[22:23], v[164:165]              // 00000000A22C: D3B140A4 18034916
	v_pk_mul_f32 v[166:167], v[22:23], v[166:167]              // 00000000A234: D3B140A6 18034D16
	v_pk_mul_f32 v[168:169], v[22:23], v[168:169]              // 00000000A23C: D3B140A8 18035116
	v_pk_mul_f32 v[170:171], v[22:23], v[170:171]              // 00000000A244: D3B140AA 18035516
	v_pk_mul_f32 v[172:173], v[22:23], v[172:173]              // 00000000A24C: D3B140AC 18035916
	v_pk_mul_f32 v[174:175], v[22:23], v[174:175]              // 00000000A254: D3B140AE 18035D16
	v_pk_mul_f32 v[176:177], v[22:23], v[176:177]              // 00000000A25C: D3B140B0 18036116
	v_pk_mul_f32 v[178:179], v[22:23], v[178:179]              // 00000000A264: D3B140B2 18036516
	v_pk_mul_f32 v[180:181], v[22:23], v[180:181]              // 00000000A26C: D3B140B4 18036916
	v_pk_mul_f32 v[182:183], v[22:23], v[182:183]              // 00000000A274: D3B140B6 18036D16
	v_pk_mul_f32 v[184:185], v[22:23], v[184:185]              // 00000000A27C: D3B140B8 18037116
	v_pk_mul_f32 v[186:187], v[22:23], v[186:187]              // 00000000A284: D3B140BA 18037516
	v_pk_mul_f32 v[188:189], v[22:23], v[188:189]              // 00000000A28C: D3B140BC 18037916
	v_pk_mul_f32 v[190:191], v[22:23], v[190:191]              // 00000000A294: D3B140BE 18037D16
	v_pk_mul_f32 v[192:193], v[22:23], v[192:193]              // 00000000A29C: D3B140C0 18038116
	v_pk_mul_f32 v[194:195], v[22:23], v[194:195]              // 00000000A2A4: D3B140C2 18038516
	v_pk_mul_f32 v[196:197], v[22:23], v[196:197]              // 00000000A2AC: D3B140C4 18038916
	v_pk_mul_f32 v[198:199], v[22:23], v[198:199]              // 00000000A2B4: D3B140C6 18038D16
	v_pk_mul_f32 v[200:201], v[22:23], v[200:201]              // 00000000A2BC: D3B140C8 18039116
	v_pk_mul_f32 v[202:203], v[22:23], v[202:203]              // 00000000A2C4: D3B140CA 18039516
	v_pk_mul_f32 v[204:205], v[22:23], v[204:205]              // 00000000A2CC: D3B140CC 18039916
	v_pk_mul_f32 v[206:207], v[22:23], v[206:207]              // 00000000A2D4: D3B140CE 18039D16
	v_pk_mul_f32 v[208:209], v[22:23], v[208:209]              // 00000000A2DC: D3B140D0 1803A116
	v_pk_mul_f32 v[210:211], v[22:23], v[210:211]              // 00000000A2E4: D3B140D2 1803A516
	v_pk_mul_f32 v[212:213], v[22:23], v[212:213]              // 00000000A2EC: D3B140D4 1803A916
	v_pk_mul_f32 v[214:215], v[22:23], v[214:215]              // 00000000A2F4: D3B140D6 1803AD16
	v_pk_mul_f32 v[216:217], v[22:23], v[216:217]              // 00000000A2FC: D3B140D8 1803B116
	v_pk_mul_f32 v[218:219], v[22:23], v[218:219]              // 00000000A304: D3B140DA 1803B516
	v_pk_mul_f32 v[220:221], v[22:23], v[220:221]              // 00000000A30C: D3B140DC 1803B916
	v_pk_mul_f32 v[222:223], v[22:23], v[222:223]              // 00000000A314: D3B140DE 1803BD16
	v_pk_mul_f32 v[224:225], v[22:23], v[224:225]              // 00000000A31C: D3B140E0 1803C116
	v_pk_mul_f32 v[226:227], v[22:23], v[226:227]              // 00000000A324: D3B140E2 1803C516
	v_pk_mul_f32 v[228:229], v[22:23], v[228:229]              // 00000000A32C: D3B140E4 1803C916
	v_pk_mul_f32 v[230:231], v[22:23], v[230:231]              // 00000000A334: D3B140E6 1803CD16
	v_pk_mul_f32 v[232:233], v[22:23], v[232:233]              // 00000000A33C: D3B140E8 1803D116
	v_pk_mul_f32 v[234:235], v[22:23], v[234:235]              // 00000000A344: D3B140EA 1803D516
	v_pk_mul_f32 v[236:237], v[22:23], v[236:237]              // 00000000A34C: D3B140EC 1803D916
	v_pk_mul_f32 v[238:239], v[22:23], v[238:239]              // 00000000A354: D3B140EE 1803DD16
	v_pk_mul_f32 v[240:241], v[22:23], v[240:241]              // 00000000A35C: D3B140F0 1803E116
	v_pk_mul_f32 v[242:243], v[22:23], v[242:243]              // 00000000A364: D3B140F2 1803E516
	v_pk_mul_f32 v[244:245], v[22:23], v[244:245]              // 00000000A36C: D3B140F4 1803E916
	v_pk_mul_f32 v[246:247], v[22:23], v[246:247]              // 00000000A374: D3B140F6 1803ED16
	v_pk_mul_f32 v[248:249], v[22:23], v[248:249]              // 00000000A37C: D3B140F8 1803F116
	v_pk_mul_f32 v[250:251], v[22:23], v[250:251]              // 00000000A384: D3B140FA 1803F516
	v_pk_mul_f32 v[252:253], v[22:23], v[252:253]              // 00000000A38C: D3B140FC 1803F916
	v_pk_mul_f32 v[254:255], v[22:23], v[254:255]              // 00000000A394: D3B140FE 1803FD16
	v_accvgpr_read_b32 v20, a172                               // 00000000A39C: D3D84014 180001AC
	v_accvgpr_read_b32 v21, a173                               // 00000000A3A4: D3D84015 180001AD
	v_pk_mul_f32 v[20:21], v[22:23], v[20:21]                  // 00000000A3AC: D3B14014 18022916
	v_accvgpr_write_b32 a172, v20                              // 00000000A3B4: D3D940AC 18000114
	v_accvgpr_write_b32 a173, v21                              // 00000000A3BC: D3D940AD 18000115
	v_accvgpr_read_b32 v20, a174                               // 00000000A3C4: D3D84014 180001AE
	v_accvgpr_read_b32 v21, a175                               // 00000000A3CC: D3D84015 180001AF
	v_pk_mul_f32 v[20:21], v[22:23], v[20:21]                  // 00000000A3D4: D3B14014 18022916
	v_accvgpr_write_b32 a174, v20                              // 00000000A3DC: D3D940AE 18000114
	v_accvgpr_write_b32 a175, v21                              // 00000000A3E4: D3D940AF 18000115
	v_accvgpr_read_b32 v20, a176                               // 00000000A3EC: D3D84014 180001B0
	v_accvgpr_read_b32 v21, a177                               // 00000000A3F4: D3D84015 180001B1
	v_pk_mul_f32 v[20:21], v[22:23], v[20:21]                  // 00000000A3FC: D3B14014 18022916
	v_accvgpr_write_b32 a176, v20                              // 00000000A404: D3D940B0 18000114
	v_accvgpr_write_b32 a177, v21                              // 00000000A40C: D3D940B1 18000115
	v_accvgpr_read_b32 v20, a178                               // 00000000A414: D3D84014 180001B2
	v_accvgpr_read_b32 v21, a179                               // 00000000A41C: D3D84015 180001B3
	v_pk_mul_f32 v[20:21], v[22:23], v[20:21]                  // 00000000A424: D3B14014 18022916
	v_accvgpr_write_b32 a178, v20                              // 00000000A42C: D3D940B2 18000114
	v_accvgpr_write_b32 a179, v21                              // 00000000A434: D3D940B3 18000115
	v_accvgpr_read_b32 v20, a180                               // 00000000A43C: D3D84014 180001B4
	v_accvgpr_read_b32 v21, a181                               // 00000000A444: D3D84015 180001B5
	v_pk_mul_f32 v[20:21], v[22:23], v[20:21]                  // 00000000A44C: D3B14014 18022916
	v_accvgpr_write_b32 a180, v20                              // 00000000A454: D3D940B4 18000114
	v_accvgpr_write_b32 a181, v21                              // 00000000A45C: D3D940B5 18000115
	v_accvgpr_read_b32 v20, a182                               // 00000000A464: D3D84014 180001B6
	v_accvgpr_read_b32 v21, a183                               // 00000000A46C: D3D84015 180001B7
	v_pk_mul_f32 v[20:21], v[22:23], v[20:21]                  // 00000000A474: D3B14014 18022916
	v_accvgpr_write_b32 a182, v20                              // 00000000A47C: D3D940B6 18000114
	v_accvgpr_write_b32 a183, v21                              // 00000000A484: D3D940B7 18000115
	v_accvgpr_read_b32 v20, a184                               // 00000000A48C: D3D84014 180001B8
	v_accvgpr_read_b32 v21, a185                               // 00000000A494: D3D84015 180001B9
	v_pk_mul_f32 v[20:21], v[22:23], v[20:21]                  // 00000000A49C: D3B14014 18022916
	v_accvgpr_write_b32 a184, v20                              // 00000000A4A4: D3D940B8 18000114
	v_accvgpr_write_b32 a185, v21                              // 00000000A4AC: D3D940B9 18000115
	v_accvgpr_read_b32 v20, a186                               // 00000000A4B4: D3D84014 180001BA
	v_accvgpr_read_b32 v21, a187                               // 00000000A4BC: D3D84015 180001BB
	v_pk_mul_f32 v[20:21], v[22:23], v[20:21]                  // 00000000A4C4: D3B14014 18022916
	v_accvgpr_write_b32 a186, v20                              // 00000000A4CC: D3D940BA 18000114
	v_accvgpr_write_b32 a187, v21                              // 00000000A4D4: D3D940BB 18000115
	v_accvgpr_read_b32 v20, a188                               // 00000000A4DC: D3D84014 180001BC
	v_accvgpr_read_b32 v21, a189                               // 00000000A4E4: D3D84015 180001BD
	v_pk_mul_f32 v[20:21], v[22:23], v[20:21]                  // 00000000A4EC: D3B14014 18022916
	v_accvgpr_write_b32 a188, v20                              // 00000000A4F4: D3D940BC 18000114
	v_accvgpr_write_b32 a189, v21                              // 00000000A4FC: D3D940BD 18000115
	v_accvgpr_read_b32 v20, a190                               // 00000000A504: D3D84014 180001BE
	v_accvgpr_read_b32 v21, a191                               // 00000000A50C: D3D84015 180001BF
	v_pk_mul_f32 v[20:21], v[22:23], v[20:21]                  // 00000000A514: D3B14014 18022916
	v_accvgpr_write_b32 a190, v20                              // 00000000A51C: D3D940BE 18000114
	v_accvgpr_write_b32 a191, v21                              // 00000000A524: D3D940BF 18000115
	v_accvgpr_read_b32 v20, a192                               // 00000000A52C: D3D84014 180001C0
	v_accvgpr_read_b32 v21, a193                               // 00000000A534: D3D84015 180001C1
	v_pk_mul_f32 v[20:21], v[22:23], v[20:21]                  // 00000000A53C: D3B14014 18022916
	v_accvgpr_write_b32 a192, v20                              // 00000000A544: D3D940C0 18000114
	v_accvgpr_write_b32 a193, v21                              // 00000000A54C: D3D940C1 18000115
	v_accvgpr_read_b32 v20, a194                               // 00000000A554: D3D84014 180001C2
	v_accvgpr_read_b32 v21, a195                               // 00000000A55C: D3D84015 180001C3
	v_pk_mul_f32 v[20:21], v[22:23], v[20:21]                  // 00000000A564: D3B14014 18022916
	v_accvgpr_write_b32 a194, v20                              // 00000000A56C: D3D940C2 18000114
	v_accvgpr_write_b32 a195, v21                              // 00000000A574: D3D940C3 18000115
	v_accvgpr_read_b32 v20, a196                               // 00000000A57C: D3D84014 180001C4
	v_accvgpr_read_b32 v21, a197                               // 00000000A584: D3D84015 180001C5
	v_pk_mul_f32 v[20:21], v[22:23], v[20:21]                  // 00000000A58C: D3B14014 18022916
	v_accvgpr_write_b32 a196, v20                              // 00000000A594: D3D940C4 18000114
	v_accvgpr_write_b32 a197, v21                              // 00000000A59C: D3D940C5 18000115
	v_accvgpr_read_b32 v20, a198                               // 00000000A5A4: D3D84014 180001C6
	v_accvgpr_read_b32 v21, a199                               // 00000000A5AC: D3D84015 180001C7
	v_pk_mul_f32 v[20:21], v[22:23], v[20:21]                  // 00000000A5B4: D3B14014 18022916
	v_accvgpr_write_b32 a198, v20                              // 00000000A5BC: D3D940C6 18000114
	v_accvgpr_write_b32 a199, v21                              // 00000000A5C4: D3D940C7 18000115
	s_waitcnt vmcnt(18) lgkmcnt(0)                             // 00000000A5CC: BF8C4072
	s_barrier                                                  // 00000000A5D0: BF8A0000
	v_mfma_f32_16x16x32_fp8_fp8 v[156:159], a[72:73], v[42:43], v[156:159]// 00000000A5D4: D3F3009C 0E725548
	v_mfma_f32_16x16x32_fp8_fp8 v[160:163], a[74:75], v[42:43], v[160:163]// 00000000A5DC: D3F300A0 0E82554A
	v_mfma_f32_16x16x32_fp8_fp8 v[164:167], a[76:77], v[42:43], v[164:167]// 00000000A5E4: D3F300A4 0E92554C
	v_mfma_f32_16x16x32_fp8_fp8 v[168:171], a[78:79], v[42:43], v[168:171]// 00000000A5EC: D3F300A8 0EA2554E
	v_mfma_f32_16x16x32_fp8_fp8 v[172:175], a[80:81], v[42:43], v[172:175]// 00000000A5F4: D3F300AC 0EB25550
	v_mfma_f32_16x16x32_fp8_fp8 v[176:179], a[82:83], v[42:43], v[176:179]// 00000000A5FC: D3F300B0 0EC25552
	v_mfma_f32_16x16x32_fp8_fp8 v[180:183], a[84:85], v[42:43], v[180:183]// 00000000A604: D3F300B4 0ED25554
	v_mfma_f32_16x16x32_fp8_fp8 v[184:187], a[86:87], v[42:43], v[184:187]// 00000000A60C: D3F300B8 0EE25556
	v_mfma_f32_16x16x32_fp8_fp8 v[188:191], a[88:89], v[42:43], v[188:191]// 00000000A614: D3F300BC 0EF25558
	v_mfma_f32_16x16x32_fp8_fp8 v[192:195], a[90:91], v[42:43], v[192:195]// 00000000A61C: D3F300C0 0F02555A
	v_mfma_f32_16x16x32_fp8_fp8 v[196:199], a[92:93], v[42:43], v[196:199]// 00000000A624: D3F300C4 0F12555C
	v_mfma_f32_16x16x32_fp8_fp8 v[200:203], a[94:95], v[42:43], v[200:203]// 00000000A62C: D3F300C8 0F22555E
	v_mfma_f32_16x16x32_fp8_fp8 v[204:207], a[96:97], v[42:43], v[204:207]// 00000000A634: D3F300CC 0F325560
	v_mfma_f32_16x16x32_fp8_fp8 v[208:211], a[98:99], v[42:43], v[208:211]// 00000000A63C: D3F300D0 0F425562
	v_mfma_f32_16x16x32_fp8_fp8 v[212:215], a[100:101], v[42:43], v[212:215]// 00000000A644: D3F300D4 0F525564
	v_mfma_f32_16x16x32_fp8_fp8 v[216:219], a[102:103], v[42:43], v[216:219]// 00000000A64C: D3F300D8 0F625566
	v_mfma_f32_16x16x32_fp8_fp8 v[220:223], a[104:105], v[42:43], v[220:223]// 00000000A654: D3F300DC 0F725568
	v_mfma_f32_16x16x32_fp8_fp8 v[224:227], a[106:107], v[42:43], v[224:227]// 00000000A65C: D3F300E0 0F82556A
	v_mfma_f32_16x16x32_fp8_fp8 v[228:231], a[108:109], v[42:43], v[228:231]// 00000000A664: D3F300E4 0F92556C
	v_mfma_f32_16x16x32_fp8_fp8 v[232:235], a[110:111], v[42:43], v[232:235]// 00000000A66C: D3F300E8 0FA2556E
	v_mfma_f32_16x16x32_fp8_fp8 v[236:239], a[112:113], v[42:43], v[236:239]// 00000000A674: D3F300EC 0FB25570
	v_mfma_f32_16x16x32_fp8_fp8 v[240:243], a[114:115], v[42:43], v[240:243]// 00000000A67C: D3F300F0 0FC25572
	v_mfma_f32_16x16x32_fp8_fp8 v[244:247], a[116:117], v[42:43], v[244:247]// 00000000A684: D3F300F4 0FD25574
	v_mfma_f32_16x16x32_fp8_fp8 v[248:251], a[118:119], v[42:43], v[248:251]// 00000000A68C: D3F300F8 0FE25576
	v_mfma_f32_16x16x32_fp8_fp8 v[252:255], a[120:121], v[42:43], v[252:255]// 00000000A694: D3F300FC 0FF25578
	v_mfma_f32_16x16x32_fp8_fp8 a[172:175], a[122:123], v[42:43], a[172:175]// 00000000A69C: D3F380AC 0EB2557A
	v_mfma_f32_16x16x32_fp8_fp8 a[176:179], a[124:125], v[42:43], a[176:179]// 00000000A6A4: D3F380B0 0EC2557C
	v_mfma_f32_16x16x32_fp8_fp8 a[180:183], a[126:127], v[42:43], a[180:183]// 00000000A6AC: D3F380B4 0ED2557E
	v_mfma_f32_16x16x32_fp8_fp8 a[184:187], a[128:129], v[42:43], a[184:187]// 00000000A6B4: D3F380B8 0EE25580
	v_mfma_f32_16x16x32_fp8_fp8 a[188:191], a[130:131], v[42:43], a[188:191]// 00000000A6BC: D3F380BC 0EF25582
	v_mfma_f32_16x16x32_fp8_fp8 a[192:195], a[132:133], v[42:43], a[192:195]// 00000000A6C4: D3F380C0 0F025584
	v_mfma_f32_16x16x32_fp8_fp8 a[196:199], a[134:135], v[42:43], a[196:199]// 00000000A6CC: D3F380C4 0F125586
	s_nop 8                                                    // 00000000A6D4: BF800008
	s_branch label_20F7                                        // 00000000A6D8: BF820000

000000000000a6dc <label_20F7>:
	ds_write_b32 v3, v14 offset:55552                          // 00000000A6DC: D81AD900 00000E03
	ds_write_b32 v3, v15 offset:56576                          // 00000000A6E4: D81ADD00 00000F03
	s_waitcnt lgkmcnt(0)                                       // 00000000A6EC: BF8CC07F
	ds_read_b32 v20, v2 offset:55552                           // 00000000A6F0: D86CD900 14000002
	ds_read_b32 v21, v2 offset:55616                           // 00000000A6F8: D86CD940 15000002
	ds_read_b32 v22, v2 offset:55680                           // 00000000A700: D86CD980 16000002
	ds_read_b32 v23, v2 offset:55744                           // 00000000A708: D86CD9C0 17000002
	ds_read_b32 v24, v2 offset:56576                           // 00000000A710: D86CDD00 18000002
	ds_read_b32 v25, v2 offset:56640                           // 00000000A718: D86CDD40 19000002
	ds_read_b32 v26, v2 offset:56704                           // 00000000A720: D86CDD80 1A000002
	ds_read_b32 v27, v2 offset:56768                           // 00000000A728: D86CDDC0 1B000002
	s_waitcnt lgkmcnt(0)                                       // 00000000A730: BF8CC07F
	v_mov_b32_e32 v14, 0                                       // 00000000A734: 7E1C0280
	v_mov_b32_e32 v15, 0                                       // 00000000A738: 7E1E0280
	v_add_f32_e32 v14, v20, v14                                // 00000000A73C: 021C1D14
	v_add_f32_e32 v15, v24, v15                                // 00000000A740: 021E1F18
	v_add_f32_e32 v14, v21, v14                                // 00000000A744: 021C1D15
	v_add_f32_e32 v15, v25, v15                                // 00000000A748: 021E1F19
	v_add_f32_e32 v14, v22, v14                                // 00000000A74C: 021C1D16
	v_add_f32_e32 v15, v26, v15                                // 00000000A750: 021E1F1A
	v_add_f32_e32 v14, v23, v14                                // 00000000A754: 021C1D17
	v_add_f32_e32 v15, v27, v15                                // 00000000A758: 021E1F1B
	v_mov_b32_e32 v20, 0                                       // 00000000A75C: 7E280280
	v_cmp_eq_u32_e64 s[38:39], v20, v14                        // 00000000A760: D0CA0026 00021D14
	v_cmp_eq_u32_e64 s[40:41], v20, v15                        // 00000000A768: D0CA0028 00021F14
	v_mul_f32_e64 v20, v12, s64                                // 00000000A770: D1050014 0000810C
	v_mul_f32_e64 v22, v13, s64                                // 00000000A778: D1050016 0000810D
	v_log_f32_e32 v21, v14                                     // 00000000A780: 7E2A430E
	v_log_f32_e32 v23, v15                                     // 00000000A784: 7E2E430F
	v_cndmask_b32_e64 v14, v14, 1.0, s[38:39]                  // 00000000A788: D100000E 0099E50E
	v_cndmask_b32_e64 v15, v15, 1.0, s[40:41]                  // 00000000A790: D100000F 00A1E50F
	s_nop 1                                                    // 00000000A798: BF800001
	v_rcp_f32_e32 v14, v14                                     // 00000000A79C: 7E1C450E
	v_rcp_f32_e32 v15, v15                                     // 00000000A7A0: 7E1E450F
	s_nop 1                                                    // 00000000A7A4: BF800001
	v_fma_f32 v24, v21, s63, v20                               // 00000000A7A8: D1CB0018 04507F15
	v_fma_f32 v25, v23, s63, v22                               // 00000000A7B0: D1CB0019 04587F17
	v_mul_f32_e32 v14, s43, v14                                // 00000000A7B8: 0A1C1C2B
	v_mul_f32_e32 v15, s43, v15                                // 00000000A7BC: 0A1E1E2B
	v_mul_f32_e32 v56, v14, v56                                // 00000000A7C0: 0A70710E
	v_mul_f32_e32 v57, v14, v57                                // 00000000A7C4: 0A72730E
	v_mul_f32_e32 v58, v14, v58                                // 00000000A7C8: 0A74750E
	v_mul_f32_e32 v59, v14, v59                                // 00000000A7CC: 0A76770E
	v_mul_f32_e32 v60, v14, v60                                // 00000000A7D0: 0A78790E
	v_mul_f32_e32 v61, v14, v61                                // 00000000A7D4: 0A7A7B0E
	v_mul_f32_e32 v62, v14, v62                                // 00000000A7D8: 0A7C7D0E
	v_mul_f32_e32 v63, v14, v63                                // 00000000A7DC: 0A7E7F0E
	v_mul_f32_e32 v64, v14, v64                                // 00000000A7E0: 0A80810E
	v_mul_f32_e32 v65, v14, v65                                // 00000000A7E4: 0A82830E
	v_mul_f32_e32 v66, v14, v66                                // 00000000A7E8: 0A84850E
	v_mul_f32_e32 v67, v14, v67                                // 00000000A7EC: 0A86870E
	v_mul_f32_e32 v68, v14, v68                                // 00000000A7F0: 0A88890E
	v_mul_f32_e32 v69, v14, v69                                // 00000000A7F4: 0A8A8B0E
	v_mul_f32_e32 v70, v14, v70                                // 00000000A7F8: 0A8C8D0E
	v_mul_f32_e32 v71, v14, v71                                // 00000000A7FC: 0A8E8F0E
	v_mul_f32_e32 v72, v14, v72                                // 00000000A800: 0A90910E
	v_mul_f32_e32 v73, v14, v73                                // 00000000A804: 0A92930E
	v_mul_f32_e32 v74, v14, v74                                // 00000000A808: 0A94950E
	v_mul_f32_e32 v75, v14, v75                                // 00000000A80C: 0A96970E
	v_mul_f32_e32 v76, v14, v76                                // 00000000A810: 0A98990E
	v_mul_f32_e32 v77, v14, v77                                // 00000000A814: 0A9A9B0E
	v_mul_f32_e32 v78, v14, v78                                // 00000000A818: 0A9C9D0E
	v_mul_f32_e32 v79, v14, v79                                // 00000000A81C: 0A9E9F0E
	v_mul_f32_e32 v80, v14, v80                                // 00000000A820: 0AA0A10E
	v_mul_f32_e32 v81, v14, v81                                // 00000000A824: 0AA2A30E
	v_mul_f32_e32 v82, v14, v82                                // 00000000A828: 0AA4A50E
	v_mul_f32_e32 v83, v14, v83                                // 00000000A82C: 0AA6A70E
	v_mul_f32_e32 v84, v14, v84                                // 00000000A830: 0AA8A90E
	v_mul_f32_e32 v85, v14, v85                                // 00000000A834: 0AAAAB0E
	v_mul_f32_e32 v86, v14, v86                                // 00000000A838: 0AACAD0E
	v_mul_f32_e32 v87, v14, v87                                // 00000000A83C: 0AAEAF0E
	v_mul_f32_e32 v88, v14, v88                                // 00000000A840: 0AB0B10E
	v_mul_f32_e32 v89, v14, v89                                // 00000000A844: 0AB2B30E
	v_mul_f32_e32 v90, v14, v90                                // 00000000A848: 0AB4B50E
	v_mul_f32_e32 v91, v14, v91                                // 00000000A84C: 0AB6B70E
	v_mul_f32_e32 v92, v14, v92                                // 00000000A850: 0AB8B90E
	v_mul_f32_e32 v93, v14, v93                                // 00000000A854: 0ABABB0E
	v_mul_f32_e32 v94, v14, v94                                // 00000000A858: 0ABCBD0E
	v_mul_f32_e32 v95, v14, v95                                // 00000000A85C: 0ABEBF0E
	v_mul_f32_e32 v96, v14, v96                                // 00000000A860: 0AC0C10E
	v_mul_f32_e32 v97, v14, v97                                // 00000000A864: 0AC2C30E
	v_mul_f32_e32 v98, v14, v98                                // 00000000A868: 0AC4C50E
	v_mul_f32_e32 v99, v14, v99                                // 00000000A86C: 0AC6C70E
	v_mul_f32_e32 v100, v14, v100                              // 00000000A870: 0AC8C90E
	v_mul_f32_e32 v101, v14, v101                              // 00000000A874: 0ACACB0E
	v_mul_f32_e32 v102, v14, v102                              // 00000000A878: 0ACCCD0E
	v_mul_f32_e32 v103, v14, v103                              // 00000000A87C: 0ACECF0E
	v_mul_f32_e32 v104, v14, v104                              // 00000000A880: 0AD0D10E
	v_mul_f32_e32 v105, v14, v105                              // 00000000A884: 0AD2D30E
	v_mul_f32_e32 v106, v14, v106                              // 00000000A888: 0AD4D50E
	v_mul_f32_e32 v107, v14, v107                              // 00000000A88C: 0AD6D70E
	v_mul_f32_e32 v108, v14, v108                              // 00000000A890: 0AD8D90E
	v_mul_f32_e32 v109, v14, v109                              // 00000000A894: 0ADADB0E
	v_mul_f32_e32 v110, v14, v110                              // 00000000A898: 0ADCDD0E
	v_mul_f32_e32 v111, v14, v111                              // 00000000A89C: 0ADEDF0E
	v_mul_f32_e32 v112, v14, v112                              // 00000000A8A0: 0AE0E10E
	v_mul_f32_e32 v113, v14, v113                              // 00000000A8A4: 0AE2E30E
	v_mul_f32_e32 v114, v14, v114                              // 00000000A8A8: 0AE4E50E
	v_mul_f32_e32 v115, v14, v115                              // 00000000A8AC: 0AE6E70E
	v_mul_f32_e32 v116, v14, v116                              // 00000000A8B0: 0AE8E90E
	v_mul_f32_e32 v117, v14, v117                              // 00000000A8B4: 0AEAEB0E
	v_mul_f32_e32 v118, v14, v118                              // 00000000A8B8: 0AECED0E
	v_mul_f32_e32 v119, v14, v119                              // 00000000A8BC: 0AEEEF0E
	v_mul_f32_e32 v120, v14, v120                              // 00000000A8C0: 0AF0F10E
	v_mul_f32_e32 v121, v14, v121                              // 00000000A8C4: 0AF2F30E
	v_mul_f32_e32 v122, v14, v122                              // 00000000A8C8: 0AF4F50E
	v_mul_f32_e32 v123, v14, v123                              // 00000000A8CC: 0AF6F70E
	v_mul_f32_e32 v124, v14, v124                              // 00000000A8D0: 0AF8F90E
	v_mul_f32_e32 v125, v14, v125                              // 00000000A8D4: 0AFAFB0E
	v_mul_f32_e32 v126, v14, v126                              // 00000000A8D8: 0AFCFD0E
	v_mul_f32_e32 v127, v14, v127                              // 00000000A8DC: 0AFEFF0E
	v_mul_f32_e32 v128, v14, v128                              // 00000000A8E0: 0B01010E
	v_mul_f32_e32 v129, v14, v129                              // 00000000A8E4: 0B03030E
	v_mul_f32_e32 v130, v14, v130                              // 00000000A8E8: 0B05050E
	v_mul_f32_e32 v131, v14, v131                              // 00000000A8EC: 0B07070E
	v_mul_f32_e32 v132, v14, v132                              // 00000000A8F0: 0B09090E
	v_mul_f32_e32 v133, v14, v133                              // 00000000A8F4: 0B0B0B0E
	v_mul_f32_e32 v134, v14, v134                              // 00000000A8F8: 0B0D0D0E
	v_mul_f32_e32 v135, v14, v135                              // 00000000A8FC: 0B0F0F0E
	v_mul_f32_e32 v136, v14, v136                              // 00000000A900: 0B11110E
	v_mul_f32_e32 v137, v14, v137                              // 00000000A904: 0B13130E
	v_mul_f32_e32 v138, v14, v138                              // 00000000A908: 0B15150E
	v_mul_f32_e32 v139, v14, v139                              // 00000000A90C: 0B17170E
	v_mul_f32_e32 v140, v14, v140                              // 00000000A910: 0B19190E
	v_mul_f32_e32 v141, v14, v141                              // 00000000A914: 0B1B1B0E
	v_mul_f32_e32 v142, v14, v142                              // 00000000A918: 0B1D1D0E
	v_mul_f32_e32 v143, v14, v143                              // 00000000A91C: 0B1F1F0E
	v_mul_f32_e32 v144, v14, v144                              // 00000000A920: 0B21210E
	v_mul_f32_e32 v145, v14, v145                              // 00000000A924: 0B23230E
	v_mul_f32_e32 v146, v14, v146                              // 00000000A928: 0B25250E
	v_mul_f32_e32 v147, v14, v147                              // 00000000A92C: 0B27270E
	v_mul_f32_e32 v148, v14, v148                              // 00000000A930: 0B29290E
	v_mul_f32_e32 v149, v14, v149                              // 00000000A934: 0B2B2B0E
	v_mul_f32_e32 v150, v14, v150                              // 00000000A938: 0B2D2D0E
	v_mul_f32_e32 v151, v14, v151                              // 00000000A93C: 0B2F2F0E
	v_mul_f32_e32 v152, v14, v152                              // 00000000A940: 0B31310E
	v_mul_f32_e32 v153, v14, v153                              // 00000000A944: 0B33330E
	v_mul_f32_e32 v154, v14, v154                              // 00000000A948: 0B35350E
	v_mul_f32_e32 v155, v14, v155                              // 00000000A94C: 0B37370E
	v_accvgpr_read_b32 v20, a144                               // 00000000A950: D3D84014 18000190
	v_accvgpr_read_b32 v21, a145                               // 00000000A958: D3D84015 18000191
	v_mul_f32_e32 v20, v14, v20                                // 00000000A960: 0A28290E
	v_mul_f32_e32 v21, v14, v21                                // 00000000A964: 0A2A2B0E
	v_accvgpr_write_b32 a144, v20                              // 00000000A968: D3D94090 18000114
	v_accvgpr_write_b32 a145, v21                              // 00000000A970: D3D94091 18000115
	v_accvgpr_read_b32 v20, a146                               // 00000000A978: D3D84014 18000192
	v_accvgpr_read_b32 v21, a147                               // 00000000A980: D3D84015 18000193
	v_mul_f32_e32 v20, v14, v20                                // 00000000A988: 0A28290E
	v_mul_f32_e32 v21, v14, v21                                // 00000000A98C: 0A2A2B0E
	v_accvgpr_write_b32 a146, v20                              // 00000000A990: D3D94092 18000114
	v_accvgpr_write_b32 a147, v21                              // 00000000A998: D3D94093 18000115
	v_accvgpr_read_b32 v20, a148                               // 00000000A9A0: D3D84014 18000194
	v_accvgpr_read_b32 v21, a149                               // 00000000A9A8: D3D84015 18000195
	v_mul_f32_e32 v20, v14, v20                                // 00000000A9B0: 0A28290E
	v_mul_f32_e32 v21, v14, v21                                // 00000000A9B4: 0A2A2B0E
	v_accvgpr_write_b32 a148, v20                              // 00000000A9B8: D3D94094 18000114
	v_accvgpr_write_b32 a149, v21                              // 00000000A9C0: D3D94095 18000115
	v_accvgpr_read_b32 v20, a150                               // 00000000A9C8: D3D84014 18000196
	v_accvgpr_read_b32 v21, a151                               // 00000000A9D0: D3D84015 18000197
	v_mul_f32_e32 v20, v14, v20                                // 00000000A9D8: 0A28290E
	v_mul_f32_e32 v21, v14, v21                                // 00000000A9DC: 0A2A2B0E
	v_accvgpr_write_b32 a150, v20                              // 00000000A9E0: D3D94096 18000114
	v_accvgpr_write_b32 a151, v21                              // 00000000A9E8: D3D94097 18000115
	v_accvgpr_read_b32 v20, a152                               // 00000000A9F0: D3D84014 18000198
	v_accvgpr_read_b32 v21, a153                               // 00000000A9F8: D3D84015 18000199
	v_mul_f32_e32 v20, v14, v20                                // 00000000AA00: 0A28290E
	v_mul_f32_e32 v21, v14, v21                                // 00000000AA04: 0A2A2B0E
	v_accvgpr_write_b32 a152, v20                              // 00000000AA08: D3D94098 18000114
	v_accvgpr_write_b32 a153, v21                              // 00000000AA10: D3D94099 18000115
	v_accvgpr_read_b32 v20, a154                               // 00000000AA18: D3D84014 1800019A
	v_accvgpr_read_b32 v21, a155                               // 00000000AA20: D3D84015 1800019B
	v_mul_f32_e32 v20, v14, v20                                // 00000000AA28: 0A28290E
	v_mul_f32_e32 v21, v14, v21                                // 00000000AA2C: 0A2A2B0E
	v_accvgpr_write_b32 a154, v20                              // 00000000AA30: D3D9409A 18000114
	v_accvgpr_write_b32 a155, v21                              // 00000000AA38: D3D9409B 18000115
	v_accvgpr_read_b32 v20, a156                               // 00000000AA40: D3D84014 1800019C
	v_accvgpr_read_b32 v21, a157                               // 00000000AA48: D3D84015 1800019D
	v_mul_f32_e32 v20, v14, v20                                // 00000000AA50: 0A28290E
	v_mul_f32_e32 v21, v14, v21                                // 00000000AA54: 0A2A2B0E
	v_accvgpr_write_b32 a156, v20                              // 00000000AA58: D3D9409C 18000114
	v_accvgpr_write_b32 a157, v21                              // 00000000AA60: D3D9409D 18000115
	v_accvgpr_read_b32 v20, a158                               // 00000000AA68: D3D84014 1800019E
	v_accvgpr_read_b32 v21, a159                               // 00000000AA70: D3D84015 1800019F
	v_mul_f32_e32 v20, v14, v20                                // 00000000AA78: 0A28290E
	v_mul_f32_e32 v21, v14, v21                                // 00000000AA7C: 0A2A2B0E
	v_accvgpr_write_b32 a158, v20                              // 00000000AA80: D3D9409E 18000114
	v_accvgpr_write_b32 a159, v21                              // 00000000AA88: D3D9409F 18000115
	v_accvgpr_read_b32 v20, a160                               // 00000000AA90: D3D84014 180001A0
	v_accvgpr_read_b32 v21, a161                               // 00000000AA98: D3D84015 180001A1
	v_mul_f32_e32 v20, v14, v20                                // 00000000AAA0: 0A28290E
	v_mul_f32_e32 v21, v14, v21                                // 00000000AAA4: 0A2A2B0E
	v_accvgpr_write_b32 a160, v20                              // 00000000AAA8: D3D940A0 18000114
	v_accvgpr_write_b32 a161, v21                              // 00000000AAB0: D3D940A1 18000115
	v_accvgpr_read_b32 v20, a162                               // 00000000AAB8: D3D84014 180001A2
	v_accvgpr_read_b32 v21, a163                               // 00000000AAC0: D3D84015 180001A3
	v_mul_f32_e32 v20, v14, v20                                // 00000000AAC8: 0A28290E
	v_mul_f32_e32 v21, v14, v21                                // 00000000AACC: 0A2A2B0E
	v_accvgpr_write_b32 a162, v20                              // 00000000AAD0: D3D940A2 18000114
	v_accvgpr_write_b32 a163, v21                              // 00000000AAD8: D3D940A3 18000115
	v_accvgpr_read_b32 v20, a164                               // 00000000AAE0: D3D84014 180001A4
	v_accvgpr_read_b32 v21, a165                               // 00000000AAE8: D3D84015 180001A5
	v_mul_f32_e32 v20, v14, v20                                // 00000000AAF0: 0A28290E
	v_mul_f32_e32 v21, v14, v21                                // 00000000AAF4: 0A2A2B0E
	v_accvgpr_write_b32 a164, v20                              // 00000000AAF8: D3D940A4 18000114
	v_accvgpr_write_b32 a165, v21                              // 00000000AB00: D3D940A5 18000115
	v_accvgpr_read_b32 v20, a166                               // 00000000AB08: D3D84014 180001A6
	v_accvgpr_read_b32 v21, a167                               // 00000000AB10: D3D84015 180001A7
	v_mul_f32_e32 v20, v14, v20                                // 00000000AB18: 0A28290E
	v_mul_f32_e32 v21, v14, v21                                // 00000000AB1C: 0A2A2B0E
	v_accvgpr_write_b32 a166, v20                              // 00000000AB20: D3D940A6 18000114
	v_accvgpr_write_b32 a167, v21                              // 00000000AB28: D3D940A7 18000115
	v_accvgpr_read_b32 v20, a168                               // 00000000AB30: D3D84014 180001A8
	v_accvgpr_read_b32 v21, a169                               // 00000000AB38: D3D84015 180001A9
	v_mul_f32_e32 v20, v14, v20                                // 00000000AB40: 0A28290E
	v_mul_f32_e32 v21, v14, v21                                // 00000000AB44: 0A2A2B0E
	v_accvgpr_write_b32 a168, v20                              // 00000000AB48: D3D940A8 18000114
	v_accvgpr_write_b32 a169, v21                              // 00000000AB50: D3D940A9 18000115
	v_accvgpr_read_b32 v20, a170                               // 00000000AB58: D3D84014 180001AA
	v_accvgpr_read_b32 v21, a171                               // 00000000AB60: D3D84015 180001AB
	v_mul_f32_e32 v20, v14, v20                                // 00000000AB68: 0A28290E
	v_mul_f32_e32 v21, v14, v21                                // 00000000AB6C: 0A2A2B0E
	v_accvgpr_write_b32 a170, v20                              // 00000000AB70: D3D940AA 18000114
	v_accvgpr_write_b32 a171, v21                              // 00000000AB78: D3D940AB 18000115
	v_mul_f32_e32 v156, v15, v156                              // 00000000AB80: 0B39390F
	v_mul_f32_e32 v157, v15, v157                              // 00000000AB84: 0B3B3B0F
	v_mul_f32_e32 v158, v15, v158                              // 00000000AB88: 0B3D3D0F
	v_mul_f32_e32 v159, v15, v159                              // 00000000AB8C: 0B3F3F0F
	v_mul_f32_e32 v160, v15, v160                              // 00000000AB90: 0B41410F
	v_mul_f32_e32 v161, v15, v161                              // 00000000AB94: 0B43430F
	v_mul_f32_e32 v162, v15, v162                              // 00000000AB98: 0B45450F
	v_mul_f32_e32 v163, v15, v163                              // 00000000AB9C: 0B47470F
	v_mul_f32_e32 v164, v15, v164                              // 00000000ABA0: 0B49490F
	v_mul_f32_e32 v165, v15, v165                              // 00000000ABA4: 0B4B4B0F
	v_mul_f32_e32 v166, v15, v166                              // 00000000ABA8: 0B4D4D0F
	v_mul_f32_e32 v167, v15, v167                              // 00000000ABAC: 0B4F4F0F
	v_mul_f32_e32 v168, v15, v168                              // 00000000ABB0: 0B51510F
	v_mul_f32_e32 v169, v15, v169                              // 00000000ABB4: 0B53530F
	v_mul_f32_e32 v170, v15, v170                              // 00000000ABB8: 0B55550F
	v_mul_f32_e32 v171, v15, v171                              // 00000000ABBC: 0B57570F
	v_mul_f32_e32 v172, v15, v172                              // 00000000ABC0: 0B59590F
	v_mul_f32_e32 v173, v15, v173                              // 00000000ABC4: 0B5B5B0F
	v_mul_f32_e32 v174, v15, v174                              // 00000000ABC8: 0B5D5D0F
	v_mul_f32_e32 v175, v15, v175                              // 00000000ABCC: 0B5F5F0F
	v_mul_f32_e32 v176, v15, v176                              // 00000000ABD0: 0B61610F
	v_mul_f32_e32 v177, v15, v177                              // 00000000ABD4: 0B63630F
	v_mul_f32_e32 v178, v15, v178                              // 00000000ABD8: 0B65650F
	v_mul_f32_e32 v179, v15, v179                              // 00000000ABDC: 0B67670F
	v_mul_f32_e32 v180, v15, v180                              // 00000000ABE0: 0B69690F
	v_mul_f32_e32 v181, v15, v181                              // 00000000ABE4: 0B6B6B0F
	v_mul_f32_e32 v182, v15, v182                              // 00000000ABE8: 0B6D6D0F
	v_mul_f32_e32 v183, v15, v183                              // 00000000ABEC: 0B6F6F0F
	v_mul_f32_e32 v184, v15, v184                              // 00000000ABF0: 0B71710F
	v_mul_f32_e32 v185, v15, v185                              // 00000000ABF4: 0B73730F
	v_mul_f32_e32 v186, v15, v186                              // 00000000ABF8: 0B75750F
	v_mul_f32_e32 v187, v15, v187                              // 00000000ABFC: 0B77770F
	v_mul_f32_e32 v188, v15, v188                              // 00000000AC00: 0B79790F
	v_mul_f32_e32 v189, v15, v189                              // 00000000AC04: 0B7B7B0F
	v_mul_f32_e32 v190, v15, v190                              // 00000000AC08: 0B7D7D0F
	v_mul_f32_e32 v191, v15, v191                              // 00000000AC0C: 0B7F7F0F
	v_mul_f32_e32 v192, v15, v192                              // 00000000AC10: 0B81810F
	v_mul_f32_e32 v193, v15, v193                              // 00000000AC14: 0B83830F
	v_mul_f32_e32 v194, v15, v194                              // 00000000AC18: 0B85850F
	v_mul_f32_e32 v195, v15, v195                              // 00000000AC1C: 0B87870F
	v_mul_f32_e32 v196, v15, v196                              // 00000000AC20: 0B89890F
	v_mul_f32_e32 v197, v15, v197                              // 00000000AC24: 0B8B8B0F
	v_mul_f32_e32 v198, v15, v198                              // 00000000AC28: 0B8D8D0F
	v_mul_f32_e32 v199, v15, v199                              // 00000000AC2C: 0B8F8F0F
	v_mul_f32_e32 v200, v15, v200                              // 00000000AC30: 0B91910F
	v_mul_f32_e32 v201, v15, v201                              // 00000000AC34: 0B93930F
	v_mul_f32_e32 v202, v15, v202                              // 00000000AC38: 0B95950F
	v_mul_f32_e32 v203, v15, v203                              // 00000000AC3C: 0B97970F
	v_mul_f32_e32 v204, v15, v204                              // 00000000AC40: 0B99990F
	v_mul_f32_e32 v205, v15, v205                              // 00000000AC44: 0B9B9B0F
	v_mul_f32_e32 v206, v15, v206                              // 00000000AC48: 0B9D9D0F
	v_mul_f32_e32 v207, v15, v207                              // 00000000AC4C: 0B9F9F0F
	v_mul_f32_e32 v208, v15, v208                              // 00000000AC50: 0BA1A10F
	v_mul_f32_e32 v209, v15, v209                              // 00000000AC54: 0BA3A30F
	v_mul_f32_e32 v210, v15, v210                              // 00000000AC58: 0BA5A50F
	v_mul_f32_e32 v211, v15, v211                              // 00000000AC5C: 0BA7A70F
	v_mul_f32_e32 v212, v15, v212                              // 00000000AC60: 0BA9A90F
	v_mul_f32_e32 v213, v15, v213                              // 00000000AC64: 0BABAB0F
	v_mul_f32_e32 v214, v15, v214                              // 00000000AC68: 0BADAD0F
	v_mul_f32_e32 v215, v15, v215                              // 00000000AC6C: 0BAFAF0F
	v_mul_f32_e32 v216, v15, v216                              // 00000000AC70: 0BB1B10F
	v_mul_f32_e32 v217, v15, v217                              // 00000000AC74: 0BB3B30F
	v_mul_f32_e32 v218, v15, v218                              // 00000000AC78: 0BB5B50F
	v_mul_f32_e32 v219, v15, v219                              // 00000000AC7C: 0BB7B70F
	v_mul_f32_e32 v220, v15, v220                              // 00000000AC80: 0BB9B90F
	v_mul_f32_e32 v221, v15, v221                              // 00000000AC84: 0BBBBB0F
	v_mul_f32_e32 v222, v15, v222                              // 00000000AC88: 0BBDBD0F
	v_mul_f32_e32 v223, v15, v223                              // 00000000AC8C: 0BBFBF0F
	v_mul_f32_e32 v224, v15, v224                              // 00000000AC90: 0BC1C10F
	v_mul_f32_e32 v225, v15, v225                              // 00000000AC94: 0BC3C30F
	v_mul_f32_e32 v226, v15, v226                              // 00000000AC98: 0BC5C50F
	v_mul_f32_e32 v227, v15, v227                              // 00000000AC9C: 0BC7C70F
	v_mul_f32_e32 v228, v15, v228                              // 00000000ACA0: 0BC9C90F
	v_mul_f32_e32 v229, v15, v229                              // 00000000ACA4: 0BCBCB0F
	v_mul_f32_e32 v230, v15, v230                              // 00000000ACA8: 0BCDCD0F
	v_mul_f32_e32 v231, v15, v231                              // 00000000ACAC: 0BCFCF0F
	v_mul_f32_e32 v232, v15, v232                              // 00000000ACB0: 0BD1D10F
	v_mul_f32_e32 v233, v15, v233                              // 00000000ACB4: 0BD3D30F
	v_mul_f32_e32 v234, v15, v234                              // 00000000ACB8: 0BD5D50F
	v_mul_f32_e32 v235, v15, v235                              // 00000000ACBC: 0BD7D70F
	v_mul_f32_e32 v236, v15, v236                              // 00000000ACC0: 0BD9D90F
	v_mul_f32_e32 v237, v15, v237                              // 00000000ACC4: 0BDBDB0F
	v_mul_f32_e32 v238, v15, v238                              // 00000000ACC8: 0BDDDD0F
	v_mul_f32_e32 v239, v15, v239                              // 00000000ACCC: 0BDFDF0F
	v_mul_f32_e32 v240, v15, v240                              // 00000000ACD0: 0BE1E10F
	v_mul_f32_e32 v241, v15, v241                              // 00000000ACD4: 0BE3E30F
	v_mul_f32_e32 v242, v15, v242                              // 00000000ACD8: 0BE5E50F
	v_mul_f32_e32 v243, v15, v243                              // 00000000ACDC: 0BE7E70F
	v_mul_f32_e32 v244, v15, v244                              // 00000000ACE0: 0BE9E90F
	v_mul_f32_e32 v245, v15, v245                              // 00000000ACE4: 0BEBEB0F
	v_mul_f32_e32 v246, v15, v246                              // 00000000ACE8: 0BEDED0F
	v_mul_f32_e32 v247, v15, v247                              // 00000000ACEC: 0BEFEF0F
	v_mul_f32_e32 v248, v15, v248                              // 00000000ACF0: 0BF1F10F
	v_mul_f32_e32 v249, v15, v249                              // 00000000ACF4: 0BF3F30F
	v_mul_f32_e32 v250, v15, v250                              // 00000000ACF8: 0BF5F50F
	v_mul_f32_e32 v251, v15, v251                              // 00000000ACFC: 0BF7F70F
	v_mul_f32_e32 v252, v15, v252                              // 00000000AD00: 0BF9F90F
	v_mul_f32_e32 v253, v15, v253                              // 00000000AD04: 0BFBFB0F
	v_mul_f32_e32 v254, v15, v254                              // 00000000AD08: 0BFDFD0F
	v_mul_f32_e32 v255, v15, v255                              // 00000000AD0C: 0BFFFF0F
	v_accvgpr_read_b32 v20, a172                               // 00000000AD10: D3D84014 180001AC
	v_accvgpr_read_b32 v21, a173                               // 00000000AD18: D3D84015 180001AD
	v_mul_f32_e32 v20, v15, v20                                // 00000000AD20: 0A28290F
	v_mul_f32_e32 v21, v15, v21                                // 00000000AD24: 0A2A2B0F
	v_accvgpr_write_b32 a172, v20                              // 00000000AD28: D3D940AC 18000114
	v_accvgpr_write_b32 a173, v21                              // 00000000AD30: D3D940AD 18000115
	v_accvgpr_read_b32 v20, a174                               // 00000000AD38: D3D84014 180001AE
	v_accvgpr_read_b32 v21, a175                               // 00000000AD40: D3D84015 180001AF
	v_mul_f32_e32 v20, v15, v20                                // 00000000AD48: 0A28290F
	v_mul_f32_e32 v21, v15, v21                                // 00000000AD4C: 0A2A2B0F
	v_accvgpr_write_b32 a174, v20                              // 00000000AD50: D3D940AE 18000114
	v_accvgpr_write_b32 a175, v21                              // 00000000AD58: D3D940AF 18000115
	v_accvgpr_read_b32 v20, a176                               // 00000000AD60: D3D84014 180001B0
	v_accvgpr_read_b32 v21, a177                               // 00000000AD68: D3D84015 180001B1
	v_mul_f32_e32 v20, v15, v20                                // 00000000AD70: 0A28290F
	v_mul_f32_e32 v21, v15, v21                                // 00000000AD74: 0A2A2B0F
	v_accvgpr_write_b32 a176, v20                              // 00000000AD78: D3D940B0 18000114
	v_accvgpr_write_b32 a177, v21                              // 00000000AD80: D3D940B1 18000115
	v_accvgpr_read_b32 v20, a178                               // 00000000AD88: D3D84014 180001B2
	v_accvgpr_read_b32 v21, a179                               // 00000000AD90: D3D84015 180001B3
	v_mul_f32_e32 v20, v15, v20                                // 00000000AD98: 0A28290F
	v_mul_f32_e32 v21, v15, v21                                // 00000000AD9C: 0A2A2B0F
	v_accvgpr_write_b32 a178, v20                              // 00000000ADA0: D3D940B2 18000114
	v_accvgpr_write_b32 a179, v21                              // 00000000ADA8: D3D940B3 18000115
	v_accvgpr_read_b32 v20, a180                               // 00000000ADB0: D3D84014 180001B4
	v_accvgpr_read_b32 v21, a181                               // 00000000ADB8: D3D84015 180001B5
	v_mul_f32_e32 v20, v15, v20                                // 00000000ADC0: 0A28290F
	v_mul_f32_e32 v21, v15, v21                                // 00000000ADC4: 0A2A2B0F
	v_accvgpr_write_b32 a180, v20                              // 00000000ADC8: D3D940B4 18000114
	v_accvgpr_write_b32 a181, v21                              // 00000000ADD0: D3D940B5 18000115
	v_accvgpr_read_b32 v20, a182                               // 00000000ADD8: D3D84014 180001B6
	v_accvgpr_read_b32 v21, a183                               // 00000000ADE0: D3D84015 180001B7
	v_mul_f32_e32 v20, v15, v20                                // 00000000ADE8: 0A28290F
	v_mul_f32_e32 v21, v15, v21                                // 00000000ADEC: 0A2A2B0F
	v_accvgpr_write_b32 a182, v20                              // 00000000ADF0: D3D940B6 18000114
	v_accvgpr_write_b32 a183, v21                              // 00000000ADF8: D3D940B7 18000115
	v_accvgpr_read_b32 v20, a184                               // 00000000AE00: D3D84014 180001B8
	v_accvgpr_read_b32 v21, a185                               // 00000000AE08: D3D84015 180001B9
	v_mul_f32_e32 v20, v15, v20                                // 00000000AE10: 0A28290F
	v_mul_f32_e32 v21, v15, v21                                // 00000000AE14: 0A2A2B0F
	v_accvgpr_write_b32 a184, v20                              // 00000000AE18: D3D940B8 18000114
	v_accvgpr_write_b32 a185, v21                              // 00000000AE20: D3D940B9 18000115
	v_accvgpr_read_b32 v20, a186                               // 00000000AE28: D3D84014 180001BA
	v_accvgpr_read_b32 v21, a187                               // 00000000AE30: D3D84015 180001BB
	v_mul_f32_e32 v20, v15, v20                                // 00000000AE38: 0A28290F
	v_mul_f32_e32 v21, v15, v21                                // 00000000AE3C: 0A2A2B0F
	v_accvgpr_write_b32 a186, v20                              // 00000000AE40: D3D940BA 18000114
	v_accvgpr_write_b32 a187, v21                              // 00000000AE48: D3D940BB 18000115
	v_accvgpr_read_b32 v20, a188                               // 00000000AE50: D3D84014 180001BC
	v_accvgpr_read_b32 v21, a189                               // 00000000AE58: D3D84015 180001BD
	v_mul_f32_e32 v20, v15, v20                                // 00000000AE60: 0A28290F
	v_mul_f32_e32 v21, v15, v21                                // 00000000AE64: 0A2A2B0F
	v_accvgpr_write_b32 a188, v20                              // 00000000AE68: D3D940BC 18000114
	v_accvgpr_write_b32 a189, v21                              // 00000000AE70: D3D940BD 18000115
	v_accvgpr_read_b32 v20, a190                               // 00000000AE78: D3D84014 180001BE
	v_accvgpr_read_b32 v21, a191                               // 00000000AE80: D3D84015 180001BF
	v_mul_f32_e32 v20, v15, v20                                // 00000000AE88: 0A28290F
	v_mul_f32_e32 v21, v15, v21                                // 00000000AE8C: 0A2A2B0F
	v_accvgpr_write_b32 a190, v20                              // 00000000AE90: D3D940BE 18000114
	v_accvgpr_write_b32 a191, v21                              // 00000000AE98: D3D940BF 18000115
	v_accvgpr_read_b32 v20, a192                               // 00000000AEA0: D3D84014 180001C0
	v_accvgpr_read_b32 v21, a193                               // 00000000AEA8: D3D84015 180001C1
	v_mul_f32_e32 v20, v15, v20                                // 00000000AEB0: 0A28290F
	v_mul_f32_e32 v21, v15, v21                                // 00000000AEB4: 0A2A2B0F
	v_accvgpr_write_b32 a192, v20                              // 00000000AEB8: D3D940C0 18000114
	v_accvgpr_write_b32 a193, v21                              // 00000000AEC0: D3D940C1 18000115
	v_accvgpr_read_b32 v20, a194                               // 00000000AEC8: D3D84014 180001C2
	v_accvgpr_read_b32 v21, a195                               // 00000000AED0: D3D84015 180001C3
	v_mul_f32_e32 v20, v15, v20                                // 00000000AED8: 0A28290F
	v_mul_f32_e32 v21, v15, v21                                // 00000000AEDC: 0A2A2B0F
	v_accvgpr_write_b32 a194, v20                              // 00000000AEE0: D3D940C2 18000114
	v_accvgpr_write_b32 a195, v21                              // 00000000AEE8: D3D940C3 18000115
	v_accvgpr_read_b32 v20, a196                               // 00000000AEF0: D3D84014 180001C4
	v_accvgpr_read_b32 v21, a197                               // 00000000AEF8: D3D84015 180001C5
	v_mul_f32_e32 v20, v15, v20                                // 00000000AF00: 0A28290F
	v_mul_f32_e32 v21, v15, v21                                // 00000000AF04: 0A2A2B0F
	v_accvgpr_write_b32 a196, v20                              // 00000000AF08: D3D940C4 18000114
	v_accvgpr_write_b32 a197, v21                              // 00000000AF10: D3D940C5 18000115
	v_accvgpr_read_b32 v20, a198                               // 00000000AF18: D3D84014 180001C6
	v_accvgpr_read_b32 v21, a199                               // 00000000AF20: D3D84015 180001C7
	v_mul_f32_e32 v20, v15, v20                                // 00000000AF28: 0A28290F
	v_mul_f32_e32 v21, v15, v21                                // 00000000AF2C: 0A2A2B0F
	v_accvgpr_write_b32 a198, v20                              // 00000000AF30: D3D940C6 18000114
	v_accvgpr_write_b32 a199, v21                              // 00000000AF38: D3D940C7 18000115
	s_cmp_le_u32 s67, 1                                        // 00000000AF40: BF0B8143
	s_cbranch_scc0 label_2D10                                  // 00000000AF44: BF8409FE
	s_mul_i32 s75, 0x400, s65                                  // 00000000AF48: 924B41FF 00000400
	s_mul_i32 s76, s67, s75                                    // 00000000AF50: 924C4B43
	s_add_u32 s56, s80, s79                                    // 00000000AF54: 80384F50
	v_mov_b32_e32 v20, s56                                     // 00000000AF58: 7E280238
	v_mul_lo_u32 v21, s76, v20                                 // 00000000AF5C: D2850015 0002284C
	v_mul_hi_u32 v22, s76, v20                                 // 00000000AF64: D2860016 0002284C
	s_nop 2                                                    // 00000000AF6C: BF800002
	v_readfirstlane_b32 s56, v21                               // 00000000AF70: 7E700515
	v_readfirstlane_b32 s57, v22                               // 00000000AF74: 7E720516
	s_nop 4                                                    // 00000000AF78: BF800004
	s_add_u32 s8, s56, s8                                      // 00000000AF7C: 80080838
	s_addc_u32 s9, s57, s9                                     // 00000000AF80: 82090939
	s_sub_u32 s56, s81, s80                                    // 00000000AF84: 80B85051
	s_mul_i32 s56, s56, s76                                    // 00000000AF88: 92384C38
	s_mov_b32 s10, s56                                         // 00000000AF8C: BE8A0038
	v_and_b32_e32 v20, 7, v0                                   // 00000000AF90: 26280087
	v_lshlrev_b32_e32 v18, 4, v20                              // 00000000AF94: 24242884
	v_lshrrev_b32_e32 v20, 3, v0                               // 00000000AF98: 20280083
	v_mul_i32_i24_e32 v20, 0x400, v20                          // 00000000AF9C: 0C2828FF 00000400
	v_add_u32_e32 v18, v18, v20                                // 00000000AFA4: 68242912
	s_mul_i32 s56, s4, s75                                     // 00000000AFA8: 92384B04
	v_add_u32_e64 v18, v18, s56                                // 00000000AFAC: D1340012 00007112
	s_mul_i32 s56, s7, 0x4000                                  // 00000000AFB4: 9238FF07 00004000
	v_add_u32_e64 v18, v18, s56                                // 00000000AFBC: D1340012 00007112
	v_mov_b32_e32 v19, v18                                     // 00000000AFC4: 7E260312
	s_waitcnt vmcnt(0) lgkmcnt(0)                              // 00000000AFC8: BF8C0070
	s_barrier                                                  // 00000000AFCC: BF8A0000
	s_mul_i32 s75, 0x400, s65                                  // 00000000AFD0: 924B41FF 00000400
	s_mul_i32 s76, s67, s75                                    // 00000000AFD8: 924C4B43
	v_lshrrev_b32_e32 v20, 4, v0                               // 00000000AFDC: 20280084
	v_mul_i32_i24_e32 v5, 0x48, v20                            // 00000000AFE0: 0C0A28FF 00000048
	v_and_b32_e32 v20, 15, v0                                  // 00000000AFE8: 2628008F
	v_mul_i32_i24_e32 v20, 2, v20                              // 00000000AFEC: 0C282882
	v_add_u32_e32 v5, v20, v5                                  // 00000000AFF0: 680A0B14
	s_mul_i32 s56, s7, 0x480                                   // 00000000AFF4: 9238FF07 00000480
	v_add_u32_e32 v5, s56, v5                                  // 00000000AFFC: 680A0A38
	v_lshlrev_b32_e32 v5, 2, v5                                // 00000000B000: 240A0A82
	v_lshrrev_b32_e32 v20, 3, v0                               // 00000000B004: 20280083
	v_mul_i32_i24_e32 v4, 2, v20                               // 00000000B008: 0C082882
	v_and_b32_e32 v20, 7, v0                                   // 00000000B00C: 26280087
	v_mul_i32_i24_e32 v20, 36, v20                             // 00000000B010: 0C2828A4
	v_add_u32_e32 v4, v20, v4                                  // 00000000B014: 68080914
	s_mul_i32 s56, s7, 0x480                                   // 00000000B018: 9238FF07 00000480
	v_add_u32_e32 v4, s56, v4                                  // 00000000B020: 68080838
	v_lshlrev_b32_e32 v4, 2, v4                                // 00000000B024: 24080882
	v_mov_b32_e32 v29, 0xffff0000                              // 00000000B028: 7E3A02FF FFFF0000
	v_mov_b32_e32 v30, 0x7fff0000                              // 00000000B030: 7E3C02FF 7FFF0000
	v_mov_b32_e32 v31, 0x7fff                                  // 00000000B038: 7E3E02FF 00007FFF
	s_mov_b32 s56, 0                                           // 00000000B040: BEB80080
	v_add_u32_e64 v19, v19, s56                                // 00000000B044: D1340013 00007113
	v_mov_b32_e32 v24, v56                                     // 00000000B04C: 7E300338
	v_mov_b32_e32 v25, v60                                     // 00000000B050: 7E32033C
	v_mov_b32_e32 v26, v64                                     // 00000000B054: 7E340340
	v_mov_b32_e32 v27, v68                                     // 00000000B058: 7E360344
	v_cmp_u_f32_e64 s[38:39], v24, v24                         // 00000000B05C: D0480026 00023118
	v_add3_u32 v28, v24, v31, 1                                // 00000000B064: D1FF001C 02063F18
	v_cndmask_b32_e64 v20, v28, v30, s[38:39]                  // 00000000B06C: D1000014 009A3D1C
	v_cmp_u_f32_e64 s[38:39], v25, v25                         // 00000000B074: D0480026 00023319
	v_add3_u32 v28, v25, v31, 1                                // 00000000B07C: D1FF001C 02063F19
	v_cndmask_b32_e64 v21, v28, v30, s[38:39]                  // 00000000B084: D1000015 009A3D1C
	v_perm_b32 v24, v21, v20, s51                              // 00000000B08C: D1ED0018 00CE2915
	v_cmp_u_f32_e64 s[38:39], v26, v26                         // 00000000B094: D0480026 0002351A
	v_add3_u32 v28, v26, v31, 1                                // 00000000B09C: D1FF001C 02063F1A
	v_cndmask_b32_e64 v20, v28, v30, s[38:39]                  // 00000000B0A4: D1000014 009A3D1C
	v_cmp_u_f32_e64 s[38:39], v27, v27                         // 00000000B0AC: D0480026 0002371B
	v_add3_u32 v28, v27, v31, 1                                // 00000000B0B4: D1FF001C 02063F1B
	v_cndmask_b32_e64 v21, v28, v30, s[38:39]                  // 00000000B0BC: D1000015 009A3D1C
	v_perm_b32 v25, v21, v20, s51                              // 00000000B0C4: D1ED0019 00CE2915
	ds_write_b64 v5, v[24:25]                                  // 00000000B0CC: D89A0000 00001805
	v_mov_b32_e32 v24, v57                                     // 00000000B0D4: 7E300339
	v_mov_b32_e32 v25, v61                                     // 00000000B0D8: 7E32033D
	v_mov_b32_e32 v26, v65                                     // 00000000B0DC: 7E340341
	v_mov_b32_e32 v27, v69                                     // 00000000B0E0: 7E360345
	v_cmp_u_f32_e64 s[38:39], v24, v24                         // 00000000B0E4: D0480026 00023118
	v_add3_u32 v28, v24, v31, 1                                // 00000000B0EC: D1FF001C 02063F18
	v_cndmask_b32_e64 v20, v28, v30, s[38:39]                  // 00000000B0F4: D1000014 009A3D1C
	v_cmp_u_f32_e64 s[38:39], v25, v25                         // 00000000B0FC: D0480026 00023319
	v_add3_u32 v28, v25, v31, 1                                // 00000000B104: D1FF001C 02063F19
	v_cndmask_b32_e64 v21, v28, v30, s[38:39]                  // 00000000B10C: D1000015 009A3D1C
	v_perm_b32 v24, v21, v20, s51                              // 00000000B114: D1ED0018 00CE2915
	v_cmp_u_f32_e64 s[38:39], v26, v26                         // 00000000B11C: D0480026 0002351A
	v_add3_u32 v28, v26, v31, 1                                // 00000000B124: D1FF001C 02063F1A
	v_cndmask_b32_e64 v20, v28, v30, s[38:39]                  // 00000000B12C: D1000014 009A3D1C
	v_cmp_u_f32_e64 s[38:39], v27, v27                         // 00000000B134: D0480026 0002371B
	v_add3_u32 v28, v27, v31, 1                                // 00000000B13C: D1FF001C 02063F1B
	v_cndmask_b32_e64 v21, v28, v30, s[38:39]                  // 00000000B144: D1000015 009A3D1C
	v_perm_b32 v25, v21, v20, s51                              // 00000000B14C: D1ED0019 00CE2915
	ds_write_b64 v5, v[24:25] offset:1152                      // 00000000B154: D89A0480 00001805
	v_mov_b32_e32 v24, v58                                     // 00000000B15C: 7E30033A
	v_mov_b32_e32 v25, v62                                     // 00000000B160: 7E32033E
	v_mov_b32_e32 v26, v66                                     // 00000000B164: 7E340342
	v_mov_b32_e32 v27, v70                                     // 00000000B168: 7E360346
	v_cmp_u_f32_e64 s[38:39], v24, v24                         // 00000000B16C: D0480026 00023118
	v_add3_u32 v28, v24, v31, 1                                // 00000000B174: D1FF001C 02063F18
	v_cndmask_b32_e64 v20, v28, v30, s[38:39]                  // 00000000B17C: D1000014 009A3D1C
	v_cmp_u_f32_e64 s[38:39], v25, v25                         // 00000000B184: D0480026 00023319
	v_add3_u32 v28, v25, v31, 1                                // 00000000B18C: D1FF001C 02063F19
	v_cndmask_b32_e64 v21, v28, v30, s[38:39]                  // 00000000B194: D1000015 009A3D1C
	v_perm_b32 v24, v21, v20, s51                              // 00000000B19C: D1ED0018 00CE2915
	v_cmp_u_f32_e64 s[38:39], v26, v26                         // 00000000B1A4: D0480026 0002351A
	v_add3_u32 v28, v26, v31, 1                                // 00000000B1AC: D1FF001C 02063F1A
	v_cndmask_b32_e64 v20, v28, v30, s[38:39]                  // 00000000B1B4: D1000014 009A3D1C
	v_cmp_u_f32_e64 s[38:39], v27, v27                         // 00000000B1BC: D0480026 0002371B
	v_add3_u32 v28, v27, v31, 1                                // 00000000B1C4: D1FF001C 02063F1B
	v_cndmask_b32_e64 v21, v28, v30, s[38:39]                  // 00000000B1CC: D1000015 009A3D1C
	v_perm_b32 v25, v21, v20, s51                              // 00000000B1D4: D1ED0019 00CE2915
	ds_write_b64 v5, v[24:25] offset:144                       // 00000000B1DC: D89A0090 00001805
	v_mov_b32_e32 v24, v59                                     // 00000000B1E4: 7E30033B
	v_mov_b32_e32 v25, v63                                     // 00000000B1E8: 7E32033F
	v_mov_b32_e32 v26, v67                                     // 00000000B1EC: 7E340343
	v_mov_b32_e32 v27, v71                                     // 00000000B1F0: 7E360347
	v_cmp_u_f32_e64 s[38:39], v24, v24                         // 00000000B1F4: D0480026 00023118
	v_add3_u32 v28, v24, v31, 1                                // 00000000B1FC: D1FF001C 02063F18
	v_cndmask_b32_e64 v20, v28, v30, s[38:39]                  // 00000000B204: D1000014 009A3D1C
	v_cmp_u_f32_e64 s[38:39], v25, v25                         // 00000000B20C: D0480026 00023319
	v_add3_u32 v28, v25, v31, 1                                // 00000000B214: D1FF001C 02063F19
	v_cndmask_b32_e64 v21, v28, v30, s[38:39]                  // 00000000B21C: D1000015 009A3D1C
	v_perm_b32 v24, v21, v20, s51                              // 00000000B224: D1ED0018 00CE2915
	v_cmp_u_f32_e64 s[38:39], v26, v26                         // 00000000B22C: D0480026 0002351A
	v_add3_u32 v28, v26, v31, 1                                // 00000000B234: D1FF001C 02063F1A
	v_cndmask_b32_e64 v20, v28, v30, s[38:39]                  // 00000000B23C: D1000014 009A3D1C
	v_cmp_u_f32_e64 s[38:39], v27, v27                         // 00000000B244: D0480026 0002371B
	v_add3_u32 v28, v27, v31, 1                                // 00000000B24C: D1FF001C 02063F1B
	v_cndmask_b32_e64 v21, v28, v30, s[38:39]                  // 00000000B254: D1000015 009A3D1C
	v_perm_b32 v25, v21, v20, s51                              // 00000000B25C: D1ED0019 00CE2915
	ds_write_b64 v5, v[24:25] offset:1296                      // 00000000B264: D89A0510 00001805
	v_mov_b32_e32 v24, v72                                     // 00000000B26C: 7E300348
	v_mov_b32_e32 v25, v76                                     // 00000000B270: 7E32034C
	v_mov_b32_e32 v26, v80                                     // 00000000B274: 7E340350
	v_mov_b32_e32 v27, v84                                     // 00000000B278: 7E360354
	v_cmp_u_f32_e64 s[38:39], v24, v24                         // 00000000B27C: D0480026 00023118
	v_add3_u32 v28, v24, v31, 1                                // 00000000B284: D1FF001C 02063F18
	v_cndmask_b32_e64 v20, v28, v30, s[38:39]                  // 00000000B28C: D1000014 009A3D1C
	v_cmp_u_f32_e64 s[38:39], v25, v25                         // 00000000B294: D0480026 00023319
	v_add3_u32 v28, v25, v31, 1                                // 00000000B29C: D1FF001C 02063F19
	v_cndmask_b32_e64 v21, v28, v30, s[38:39]                  // 00000000B2A4: D1000015 009A3D1C
	v_perm_b32 v24, v21, v20, s51                              // 00000000B2AC: D1ED0018 00CE2915
	v_cmp_u_f32_e64 s[38:39], v26, v26                         // 00000000B2B4: D0480026 0002351A
	v_add3_u32 v28, v26, v31, 1                                // 00000000B2BC: D1FF001C 02063F1A
	v_cndmask_b32_e64 v20, v28, v30, s[38:39]                  // 00000000B2C4: D1000014 009A3D1C
	v_cmp_u_f32_e64 s[38:39], v27, v27                         // 00000000B2CC: D0480026 0002371B
	v_add3_u32 v28, v27, v31, 1                                // 00000000B2D4: D1FF001C 02063F1B
	v_cndmask_b32_e64 v21, v28, v30, s[38:39]                  // 00000000B2DC: D1000015 009A3D1C
	v_perm_b32 v25, v21, v20, s51                              // 00000000B2E4: D1ED0019 00CE2915
	ds_write_b64 v5, v[24:25] offset:2304                      // 00000000B2EC: D89A0900 00001805
	v_mov_b32_e32 v24, v73                                     // 00000000B2F4: 7E300349
	v_mov_b32_e32 v25, v77                                     // 00000000B2F8: 7E32034D
	v_mov_b32_e32 v26, v81                                     // 00000000B2FC: 7E340351
	v_mov_b32_e32 v27, v85                                     // 00000000B300: 7E360355
	v_cmp_u_f32_e64 s[38:39], v24, v24                         // 00000000B304: D0480026 00023118
	v_add3_u32 v28, v24, v31, 1                                // 00000000B30C: D1FF001C 02063F18
	v_cndmask_b32_e64 v20, v28, v30, s[38:39]                  // 00000000B314: D1000014 009A3D1C
	v_cmp_u_f32_e64 s[38:39], v25, v25                         // 00000000B31C: D0480026 00023319
	v_add3_u32 v28, v25, v31, 1                                // 00000000B324: D1FF001C 02063F19
	v_cndmask_b32_e64 v21, v28, v30, s[38:39]                  // 00000000B32C: D1000015 009A3D1C
	v_perm_b32 v24, v21, v20, s51                              // 00000000B334: D1ED0018 00CE2915
	v_cmp_u_f32_e64 s[38:39], v26, v26                         // 00000000B33C: D0480026 0002351A
	v_add3_u32 v28, v26, v31, 1                                // 00000000B344: D1FF001C 02063F1A
	v_cndmask_b32_e64 v20, v28, v30, s[38:39]                  // 00000000B34C: D1000014 009A3D1C
	v_cmp_u_f32_e64 s[38:39], v27, v27                         // 00000000B354: D0480026 0002371B
	v_add3_u32 v28, v27, v31, 1                                // 00000000B35C: D1FF001C 02063F1B
	v_cndmask_b32_e64 v21, v28, v30, s[38:39]                  // 00000000B364: D1000015 009A3D1C
	v_perm_b32 v25, v21, v20, s51                              // 00000000B36C: D1ED0019 00CE2915
	ds_write_b64 v5, v[24:25] offset:3456                      // 00000000B374: D89A0D80 00001805
	v_mov_b32_e32 v24, v74                                     // 00000000B37C: 7E30034A
	v_mov_b32_e32 v25, v78                                     // 00000000B380: 7E32034E
	v_mov_b32_e32 v26, v82                                     // 00000000B384: 7E340352
	v_mov_b32_e32 v27, v86                                     // 00000000B388: 7E360356
	v_cmp_u_f32_e64 s[38:39], v24, v24                         // 00000000B38C: D0480026 00023118
	v_add3_u32 v28, v24, v31, 1                                // 00000000B394: D1FF001C 02063F18
	v_cndmask_b32_e64 v20, v28, v30, s[38:39]                  // 00000000B39C: D1000014 009A3D1C
	v_cmp_u_f32_e64 s[38:39], v25, v25                         // 00000000B3A4: D0480026 00023319
	v_add3_u32 v28, v25, v31, 1                                // 00000000B3AC: D1FF001C 02063F19
	v_cndmask_b32_e64 v21, v28, v30, s[38:39]                  // 00000000B3B4: D1000015 009A3D1C
	v_perm_b32 v24, v21, v20, s51                              // 00000000B3BC: D1ED0018 00CE2915
	v_cmp_u_f32_e64 s[38:39], v26, v26                         // 00000000B3C4: D0480026 0002351A
	v_add3_u32 v28, v26, v31, 1                                // 00000000B3CC: D1FF001C 02063F1A
	v_cndmask_b32_e64 v20, v28, v30, s[38:39]                  // 00000000B3D4: D1000014 009A3D1C
	v_cmp_u_f32_e64 s[38:39], v27, v27                         // 00000000B3DC: D0480026 0002371B
	v_add3_u32 v28, v27, v31, 1                                // 00000000B3E4: D1FF001C 02063F1B
	v_cndmask_b32_e64 v21, v28, v30, s[38:39]                  // 00000000B3EC: D1000015 009A3D1C
	v_perm_b32 v25, v21, v20, s51                              // 00000000B3F4: D1ED0019 00CE2915
	ds_write_b64 v5, v[24:25] offset:2448                      // 00000000B3FC: D89A0990 00001805
	v_mov_b32_e32 v24, v75                                     // 00000000B404: 7E30034B
	v_mov_b32_e32 v25, v79                                     // 00000000B408: 7E32034F
	v_mov_b32_e32 v26, v83                                     // 00000000B40C: 7E340353
	v_mov_b32_e32 v27, v87                                     // 00000000B410: 7E360357
	v_cmp_u_f32_e64 s[38:39], v24, v24                         // 00000000B414: D0480026 00023118
	v_add3_u32 v28, v24, v31, 1                                // 00000000B41C: D1FF001C 02063F18
	v_cndmask_b32_e64 v20, v28, v30, s[38:39]                  // 00000000B424: D1000014 009A3D1C
	v_cmp_u_f32_e64 s[38:39], v25, v25                         // 00000000B42C: D0480026 00023319
	v_add3_u32 v28, v25, v31, 1                                // 00000000B434: D1FF001C 02063F19
	v_cndmask_b32_e64 v21, v28, v30, s[38:39]                  // 00000000B43C: D1000015 009A3D1C
	v_perm_b32 v24, v21, v20, s51                              // 00000000B444: D1ED0018 00CE2915
	v_cmp_u_f32_e64 s[38:39], v26, v26                         // 00000000B44C: D0480026 0002351A
	v_add3_u32 v28, v26, v31, 1                                // 00000000B454: D1FF001C 02063F1A
	v_cndmask_b32_e64 v20, v28, v30, s[38:39]                  // 00000000B45C: D1000014 009A3D1C
	v_cmp_u_f32_e64 s[38:39], v27, v27                         // 00000000B464: D0480026 0002371B
	v_add3_u32 v28, v27, v31, 1                                // 00000000B46C: D1FF001C 02063F1B
	v_cndmask_b32_e64 v21, v28, v30, s[38:39]                  // 00000000B474: D1000015 009A3D1C
	v_perm_b32 v25, v21, v20, s51                              // 00000000B47C: D1ED0019 00CE2915
	ds_write_b64 v5, v[24:25] offset:3600                      // 00000000B484: D89A0E10 00001805
	s_waitcnt lgkmcnt(4)                                       // 00000000B48C: BF8CC47F
	ds_read_b64 v[56:57], v4                                   // 00000000B490: D8EC0000 38000004
	ds_read_b64 v[60:61], v4 offset:64                         // 00000000B498: D8EC0040 3C000004
	ds_read_b64 v[58:59], v4 offset:1152                       // 00000000B4A0: D8EC0480 3A000004
	ds_read_b64 v[62:63], v4 offset:1216                       // 00000000B4A8: D8EC04C0 3E000004
	s_waitcnt lgkmcnt(4)                                       // 00000000B4B0: BF8CC47F
	ds_read_b64 v[64:65], v4 offset:2304                       // 00000000B4B4: D8EC0900 40000004
	ds_read_b64 v[68:69], v4 offset:2368                       // 00000000B4BC: D8EC0940 44000004
	ds_read_b64 v[66:67], v4 offset:3456                       // 00000000B4C4: D8EC0D80 42000004
	ds_read_b64 v[70:71], v4 offset:3520                       // 00000000B4CC: D8EC0DC0 46000004
	s_waitcnt lgkmcnt(0)                                       // 00000000B4D4: BF8CC07F
	v_mov_b32_e32 v18, v19                                     // 00000000B4D8: 7E240313
	buffer_store_dwordx4 v[56:59], v18, s[8:11], 0 offen       // 00000000B4DC: E07C1000 80023812
	buffer_store_dwordx4 v[64:67], v18, s[8:11], 0 offen offset:128// 00000000B4E4: E07C1080 80024012
	v_add_u32_e32 v18, 0x2000, v18                             // 00000000B4EC: 682424FF 00002000
	buffer_store_dwordx4 v[60:63], v18, s[8:11], 0 offen       // 00000000B4F4: E07C1000 80023C12
	buffer_store_dwordx4 v[68:71], v18, s[8:11], 0 offen offset:128// 00000000B4FC: E07C1080 80024412
	v_add_u32_e32 v18, 0x2000, v18                             // 00000000B504: 682424FF 00002000
	v_mov_b32_e32 v24, v88                                     // 00000000B50C: 7E300358
	v_mov_b32_e32 v25, v92                                     // 00000000B510: 7E32035C
	v_mov_b32_e32 v26, v96                                     // 00000000B514: 7E340360
	v_mov_b32_e32 v27, v100                                    // 00000000B518: 7E360364
	v_cmp_u_f32_e64 s[38:39], v24, v24                         // 00000000B51C: D0480026 00023118
	v_add3_u32 v28, v24, v31, 1                                // 00000000B524: D1FF001C 02063F18
	v_cndmask_b32_e64 v20, v28, v30, s[38:39]                  // 00000000B52C: D1000014 009A3D1C
	v_cmp_u_f32_e64 s[38:39], v25, v25                         // 00000000B534: D0480026 00023319
	v_add3_u32 v28, v25, v31, 1                                // 00000000B53C: D1FF001C 02063F19
	v_cndmask_b32_e64 v21, v28, v30, s[38:39]                  // 00000000B544: D1000015 009A3D1C
	v_perm_b32 v24, v21, v20, s51                              // 00000000B54C: D1ED0018 00CE2915
	v_cmp_u_f32_e64 s[38:39], v26, v26                         // 00000000B554: D0480026 0002351A
	v_add3_u32 v28, v26, v31, 1                                // 00000000B55C: D1FF001C 02063F1A
	v_cndmask_b32_e64 v20, v28, v30, s[38:39]                  // 00000000B564: D1000014 009A3D1C
	v_cmp_u_f32_e64 s[38:39], v27, v27                         // 00000000B56C: D0480026 0002371B
	v_add3_u32 v28, v27, v31, 1                                // 00000000B574: D1FF001C 02063F1B
	v_cndmask_b32_e64 v21, v28, v30, s[38:39]                  // 00000000B57C: D1000015 009A3D1C
	v_perm_b32 v25, v21, v20, s51                              // 00000000B584: D1ED0019 00CE2915
	ds_write_b64 v5, v[24:25]                                  // 00000000B58C: D89A0000 00001805
	v_mov_b32_e32 v24, v89                                     // 00000000B594: 7E300359
	v_mov_b32_e32 v25, v93                                     // 00000000B598: 7E32035D
	v_mov_b32_e32 v26, v97                                     // 00000000B59C: 7E340361
	v_mov_b32_e32 v27, v101                                    // 00000000B5A0: 7E360365
	v_cmp_u_f32_e64 s[38:39], v24, v24                         // 00000000B5A4: D0480026 00023118
	v_add3_u32 v28, v24, v31, 1                                // 00000000B5AC: D1FF001C 02063F18
	v_cndmask_b32_e64 v20, v28, v30, s[38:39]                  // 00000000B5B4: D1000014 009A3D1C
	v_cmp_u_f32_e64 s[38:39], v25, v25                         // 00000000B5BC: D0480026 00023319
	v_add3_u32 v28, v25, v31, 1                                // 00000000B5C4: D1FF001C 02063F19
	v_cndmask_b32_e64 v21, v28, v30, s[38:39]                  // 00000000B5CC: D1000015 009A3D1C
	v_perm_b32 v24, v21, v20, s51                              // 00000000B5D4: D1ED0018 00CE2915
	v_cmp_u_f32_e64 s[38:39], v26, v26                         // 00000000B5DC: D0480026 0002351A
	v_add3_u32 v28, v26, v31, 1                                // 00000000B5E4: D1FF001C 02063F1A
	v_cndmask_b32_e64 v20, v28, v30, s[38:39]                  // 00000000B5EC: D1000014 009A3D1C
	v_cmp_u_f32_e64 s[38:39], v27, v27                         // 00000000B5F4: D0480026 0002371B
	v_add3_u32 v28, v27, v31, 1                                // 00000000B5FC: D1FF001C 02063F1B
	v_cndmask_b32_e64 v21, v28, v30, s[38:39]                  // 00000000B604: D1000015 009A3D1C
	v_perm_b32 v25, v21, v20, s51                              // 00000000B60C: D1ED0019 00CE2915
	ds_write_b64 v5, v[24:25] offset:1152                      // 00000000B614: D89A0480 00001805
	v_mov_b32_e32 v24, v90                                     // 00000000B61C: 7E30035A
	v_mov_b32_e32 v25, v94                                     // 00000000B620: 7E32035E
	v_mov_b32_e32 v26, v98                                     // 00000000B624: 7E340362
	v_mov_b32_e32 v27, v102                                    // 00000000B628: 7E360366
	v_cmp_u_f32_e64 s[38:39], v24, v24                         // 00000000B62C: D0480026 00023118
	v_add3_u32 v28, v24, v31, 1                                // 00000000B634: D1FF001C 02063F18
	v_cndmask_b32_e64 v20, v28, v30, s[38:39]                  // 00000000B63C: D1000014 009A3D1C
	v_cmp_u_f32_e64 s[38:39], v25, v25                         // 00000000B644: D0480026 00023319
	v_add3_u32 v28, v25, v31, 1                                // 00000000B64C: D1FF001C 02063F19
	v_cndmask_b32_e64 v21, v28, v30, s[38:39]                  // 00000000B654: D1000015 009A3D1C
	v_perm_b32 v24, v21, v20, s51                              // 00000000B65C: D1ED0018 00CE2915
	v_cmp_u_f32_e64 s[38:39], v26, v26                         // 00000000B664: D0480026 0002351A
	v_add3_u32 v28, v26, v31, 1                                // 00000000B66C: D1FF001C 02063F1A
	v_cndmask_b32_e64 v20, v28, v30, s[38:39]                  // 00000000B674: D1000014 009A3D1C
	v_cmp_u_f32_e64 s[38:39], v27, v27                         // 00000000B67C: D0480026 0002371B
	v_add3_u32 v28, v27, v31, 1                                // 00000000B684: D1FF001C 02063F1B
	v_cndmask_b32_e64 v21, v28, v30, s[38:39]                  // 00000000B68C: D1000015 009A3D1C
	v_perm_b32 v25, v21, v20, s51                              // 00000000B694: D1ED0019 00CE2915
	ds_write_b64 v5, v[24:25] offset:144                       // 00000000B69C: D89A0090 00001805
	v_mov_b32_e32 v24, v91                                     // 00000000B6A4: 7E30035B
	v_mov_b32_e32 v25, v95                                     // 00000000B6A8: 7E32035F
	v_mov_b32_e32 v26, v99                                     // 00000000B6AC: 7E340363
	v_mov_b32_e32 v27, v103                                    // 00000000B6B0: 7E360367
	v_cmp_u_f32_e64 s[38:39], v24, v24                         // 00000000B6B4: D0480026 00023118
	v_add3_u32 v28, v24, v31, 1                                // 00000000B6BC: D1FF001C 02063F18
	v_cndmask_b32_e64 v20, v28, v30, s[38:39]                  // 00000000B6C4: D1000014 009A3D1C
	v_cmp_u_f32_e64 s[38:39], v25, v25                         // 00000000B6CC: D0480026 00023319
	v_add3_u32 v28, v25, v31, 1                                // 00000000B6D4: D1FF001C 02063F19
	v_cndmask_b32_e64 v21, v28, v30, s[38:39]                  // 00000000B6DC: D1000015 009A3D1C
	v_perm_b32 v24, v21, v20, s51                              // 00000000B6E4: D1ED0018 00CE2915
	v_cmp_u_f32_e64 s[38:39], v26, v26                         // 00000000B6EC: D0480026 0002351A
	v_add3_u32 v28, v26, v31, 1                                // 00000000B6F4: D1FF001C 02063F1A
	v_cndmask_b32_e64 v20, v28, v30, s[38:39]                  // 00000000B6FC: D1000014 009A3D1C
	v_cmp_u_f32_e64 s[38:39], v27, v27                         // 00000000B704: D0480026 0002371B
	v_add3_u32 v28, v27, v31, 1                                // 00000000B70C: D1FF001C 02063F1B
	v_cndmask_b32_e64 v21, v28, v30, s[38:39]                  // 00000000B714: D1000015 009A3D1C
	v_perm_b32 v25, v21, v20, s51                              // 00000000B71C: D1ED0019 00CE2915
	ds_write_b64 v5, v[24:25] offset:1296                      // 00000000B724: D89A0510 00001805
	v_mov_b32_e32 v24, v104                                    // 00000000B72C: 7E300368
	v_mov_b32_e32 v25, v108                                    // 00000000B730: 7E32036C
	v_mov_b32_e32 v26, v112                                    // 00000000B734: 7E340370
	v_mov_b32_e32 v27, v116                                    // 00000000B738: 7E360374
	v_cmp_u_f32_e64 s[38:39], v24, v24                         // 00000000B73C: D0480026 00023118
	v_add3_u32 v28, v24, v31, 1                                // 00000000B744: D1FF001C 02063F18
	v_cndmask_b32_e64 v20, v28, v30, s[38:39]                  // 00000000B74C: D1000014 009A3D1C
	v_cmp_u_f32_e64 s[38:39], v25, v25                         // 00000000B754: D0480026 00023319
	v_add3_u32 v28, v25, v31, 1                                // 00000000B75C: D1FF001C 02063F19
	v_cndmask_b32_e64 v21, v28, v30, s[38:39]                  // 00000000B764: D1000015 009A3D1C
	v_perm_b32 v24, v21, v20, s51                              // 00000000B76C: D1ED0018 00CE2915
	v_cmp_u_f32_e64 s[38:39], v26, v26                         // 00000000B774: D0480026 0002351A
	v_add3_u32 v28, v26, v31, 1                                // 00000000B77C: D1FF001C 02063F1A
	v_cndmask_b32_e64 v20, v28, v30, s[38:39]                  // 00000000B784: D1000014 009A3D1C
	v_cmp_u_f32_e64 s[38:39], v27, v27                         // 00000000B78C: D0480026 0002371B
	v_add3_u32 v28, v27, v31, 1                                // 00000000B794: D1FF001C 02063F1B
	v_cndmask_b32_e64 v21, v28, v30, s[38:39]                  // 00000000B79C: D1000015 009A3D1C
	v_perm_b32 v25, v21, v20, s51                              // 00000000B7A4: D1ED0019 00CE2915
	ds_write_b64 v5, v[24:25] offset:2304                      // 00000000B7AC: D89A0900 00001805
	v_mov_b32_e32 v24, v105                                    // 00000000B7B4: 7E300369
	v_mov_b32_e32 v25, v109                                    // 00000000B7B8: 7E32036D
	v_mov_b32_e32 v26, v113                                    // 00000000B7BC: 7E340371
	v_mov_b32_e32 v27, v117                                    // 00000000B7C0: 7E360375
	v_cmp_u_f32_e64 s[38:39], v24, v24                         // 00000000B7C4: D0480026 00023118
	v_add3_u32 v28, v24, v31, 1                                // 00000000B7CC: D1FF001C 02063F18
	v_cndmask_b32_e64 v20, v28, v30, s[38:39]                  // 00000000B7D4: D1000014 009A3D1C
	v_cmp_u_f32_e64 s[38:39], v25, v25                         // 00000000B7DC: D0480026 00023319
	v_add3_u32 v28, v25, v31, 1                                // 00000000B7E4: D1FF001C 02063F19
	v_cndmask_b32_e64 v21, v28, v30, s[38:39]                  // 00000000B7EC: D1000015 009A3D1C
	v_perm_b32 v24, v21, v20, s51                              // 00000000B7F4: D1ED0018 00CE2915
	v_cmp_u_f32_e64 s[38:39], v26, v26                         // 00000000B7FC: D0480026 0002351A
	v_add3_u32 v28, v26, v31, 1                                // 00000000B804: D1FF001C 02063F1A
	v_cndmask_b32_e64 v20, v28, v30, s[38:39]                  // 00000000B80C: D1000014 009A3D1C
	v_cmp_u_f32_e64 s[38:39], v27, v27                         // 00000000B814: D0480026 0002371B
	v_add3_u32 v28, v27, v31, 1                                // 00000000B81C: D1FF001C 02063F1B
	v_cndmask_b32_e64 v21, v28, v30, s[38:39]                  // 00000000B824: D1000015 009A3D1C
	v_perm_b32 v25, v21, v20, s51                              // 00000000B82C: D1ED0019 00CE2915
	ds_write_b64 v5, v[24:25] offset:3456                      // 00000000B834: D89A0D80 00001805
	v_mov_b32_e32 v24, v106                                    // 00000000B83C: 7E30036A
	v_mov_b32_e32 v25, v110                                    // 00000000B840: 7E32036E
	v_mov_b32_e32 v26, v114                                    // 00000000B844: 7E340372
	v_mov_b32_e32 v27, v118                                    // 00000000B848: 7E360376
	v_cmp_u_f32_e64 s[38:39], v24, v24                         // 00000000B84C: D0480026 00023118
	v_add3_u32 v28, v24, v31, 1                                // 00000000B854: D1FF001C 02063F18
	v_cndmask_b32_e64 v20, v28, v30, s[38:39]                  // 00000000B85C: D1000014 009A3D1C
	v_cmp_u_f32_e64 s[38:39], v25, v25                         // 00000000B864: D0480026 00023319
	v_add3_u32 v28, v25, v31, 1                                // 00000000B86C: D1FF001C 02063F19
	v_cndmask_b32_e64 v21, v28, v30, s[38:39]                  // 00000000B874: D1000015 009A3D1C
	v_perm_b32 v24, v21, v20, s51                              // 00000000B87C: D1ED0018 00CE2915
	v_cmp_u_f32_e64 s[38:39], v26, v26                         // 00000000B884: D0480026 0002351A
	v_add3_u32 v28, v26, v31, 1                                // 00000000B88C: D1FF001C 02063F1A
	v_cndmask_b32_e64 v20, v28, v30, s[38:39]                  // 00000000B894: D1000014 009A3D1C
	v_cmp_u_f32_e64 s[38:39], v27, v27                         // 00000000B89C: D0480026 0002371B
	v_add3_u32 v28, v27, v31, 1                                // 00000000B8A4: D1FF001C 02063F1B
	v_cndmask_b32_e64 v21, v28, v30, s[38:39]                  // 00000000B8AC: D1000015 009A3D1C
	v_perm_b32 v25, v21, v20, s51                              // 00000000B8B4: D1ED0019 00CE2915
	ds_write_b64 v5, v[24:25] offset:2448                      // 00000000B8BC: D89A0990 00001805
	v_mov_b32_e32 v24, v107                                    // 00000000B8C4: 7E30036B
	v_mov_b32_e32 v25, v111                                    // 00000000B8C8: 7E32036F
	v_mov_b32_e32 v26, v115                                    // 00000000B8CC: 7E340373
	v_mov_b32_e32 v27, v119                                    // 00000000B8D0: 7E360377
	v_cmp_u_f32_e64 s[38:39], v24, v24                         // 00000000B8D4: D0480026 00023118
	v_add3_u32 v28, v24, v31, 1                                // 00000000B8DC: D1FF001C 02063F18
	v_cndmask_b32_e64 v20, v28, v30, s[38:39]                  // 00000000B8E4: D1000014 009A3D1C
	v_cmp_u_f32_e64 s[38:39], v25, v25                         // 00000000B8EC: D0480026 00023319
	v_add3_u32 v28, v25, v31, 1                                // 00000000B8F4: D1FF001C 02063F19
	v_cndmask_b32_e64 v21, v28, v30, s[38:39]                  // 00000000B8FC: D1000015 009A3D1C
	v_perm_b32 v24, v21, v20, s51                              // 00000000B904: D1ED0018 00CE2915
	v_cmp_u_f32_e64 s[38:39], v26, v26                         // 00000000B90C: D0480026 0002351A
	v_add3_u32 v28, v26, v31, 1                                // 00000000B914: D1FF001C 02063F1A
	v_cndmask_b32_e64 v20, v28, v30, s[38:39]                  // 00000000B91C: D1000014 009A3D1C
	v_cmp_u_f32_e64 s[38:39], v27, v27                         // 00000000B924: D0480026 0002371B
	v_add3_u32 v28, v27, v31, 1                                // 00000000B92C: D1FF001C 02063F1B
	v_cndmask_b32_e64 v21, v28, v30, s[38:39]                  // 00000000B934: D1000015 009A3D1C
	v_perm_b32 v25, v21, v20, s51                              // 00000000B93C: D1ED0019 00CE2915
	ds_write_b64 v5, v[24:25] offset:3600                      // 00000000B944: D89A0E10 00001805
	s_waitcnt lgkmcnt(4)                                       // 00000000B94C: BF8CC47F
	ds_read_b64 v[56:57], v4                                   // 00000000B950: D8EC0000 38000004
	ds_read_b64 v[60:61], v4 offset:64                         // 00000000B958: D8EC0040 3C000004
	ds_read_b64 v[58:59], v4 offset:1152                       // 00000000B960: D8EC0480 3A000004
	ds_read_b64 v[62:63], v4 offset:1216                       // 00000000B968: D8EC04C0 3E000004
	s_waitcnt lgkmcnt(4)                                       // 00000000B970: BF8CC47F
	ds_read_b64 v[64:65], v4 offset:2304                       // 00000000B974: D8EC0900 40000004
	ds_read_b64 v[68:69], v4 offset:2368                       // 00000000B97C: D8EC0940 44000004
	ds_read_b64 v[66:67], v4 offset:3456                       // 00000000B984: D8EC0D80 42000004
	ds_read_b64 v[70:71], v4 offset:3520                       // 00000000B98C: D8EC0DC0 46000004
	s_waitcnt lgkmcnt(0)                                       // 00000000B994: BF8CC07F
	v_mov_b32_e32 v18, v19                                     // 00000000B998: 7E240313
	buffer_store_dwordx4 v[56:59], v18, s[8:11], 0 offen offset:256// 00000000B99C: E07C1100 80023812
	buffer_store_dwordx4 v[64:67], v18, s[8:11], 0 offen offset:384// 00000000B9A4: E07C1180 80024012
	v_add_u32_e32 v18, 0x2000, v18                             // 00000000B9AC: 682424FF 00002000
	buffer_store_dwordx4 v[60:63], v18, s[8:11], 0 offen offset:256// 00000000B9B4: E07C1100 80023C12
	buffer_store_dwordx4 v[68:71], v18, s[8:11], 0 offen offset:384// 00000000B9BC: E07C1180 80024412
	v_add_u32_e32 v18, 0x2000, v18                             // 00000000B9C4: 682424FF 00002000
	v_mov_b32_e32 v24, v120                                    // 00000000B9CC: 7E300378
	v_mov_b32_e32 v25, v124                                    // 00000000B9D0: 7E32037C
	v_mov_b32_e32 v26, v128                                    // 00000000B9D4: 7E340380
	v_mov_b32_e32 v27, v132                                    // 00000000B9D8: 7E360384
	v_cmp_u_f32_e64 s[38:39], v24, v24                         // 00000000B9DC: D0480026 00023118
	v_add3_u32 v28, v24, v31, 1                                // 00000000B9E4: D1FF001C 02063F18
	v_cndmask_b32_e64 v20, v28, v30, s[38:39]                  // 00000000B9EC: D1000014 009A3D1C
	v_cmp_u_f32_e64 s[38:39], v25, v25                         // 00000000B9F4: D0480026 00023319
	v_add3_u32 v28, v25, v31, 1                                // 00000000B9FC: D1FF001C 02063F19
	v_cndmask_b32_e64 v21, v28, v30, s[38:39]                  // 00000000BA04: D1000015 009A3D1C
	v_perm_b32 v24, v21, v20, s51                              // 00000000BA0C: D1ED0018 00CE2915
	v_cmp_u_f32_e64 s[38:39], v26, v26                         // 00000000BA14: D0480026 0002351A
	v_add3_u32 v28, v26, v31, 1                                // 00000000BA1C: D1FF001C 02063F1A
	v_cndmask_b32_e64 v20, v28, v30, s[38:39]                  // 00000000BA24: D1000014 009A3D1C
	v_cmp_u_f32_e64 s[38:39], v27, v27                         // 00000000BA2C: D0480026 0002371B
	v_add3_u32 v28, v27, v31, 1                                // 00000000BA34: D1FF001C 02063F1B
	v_cndmask_b32_e64 v21, v28, v30, s[38:39]                  // 00000000BA3C: D1000015 009A3D1C
	v_perm_b32 v25, v21, v20, s51                              // 00000000BA44: D1ED0019 00CE2915
	ds_write_b64 v5, v[24:25]                                  // 00000000BA4C: D89A0000 00001805
	v_mov_b32_e32 v24, v121                                    // 00000000BA54: 7E300379
	v_mov_b32_e32 v25, v125                                    // 00000000BA58: 7E32037D
	v_mov_b32_e32 v26, v129                                    // 00000000BA5C: 7E340381
	v_mov_b32_e32 v27, v133                                    // 00000000BA60: 7E360385
	v_cmp_u_f32_e64 s[38:39], v24, v24                         // 00000000BA64: D0480026 00023118
	v_add3_u32 v28, v24, v31, 1                                // 00000000BA6C: D1FF001C 02063F18
	v_cndmask_b32_e64 v20, v28, v30, s[38:39]                  // 00000000BA74: D1000014 009A3D1C
	v_cmp_u_f32_e64 s[38:39], v25, v25                         // 00000000BA7C: D0480026 00023319
	v_add3_u32 v28, v25, v31, 1                                // 00000000BA84: D1FF001C 02063F19
	v_cndmask_b32_e64 v21, v28, v30, s[38:39]                  // 00000000BA8C: D1000015 009A3D1C
	v_perm_b32 v24, v21, v20, s51                              // 00000000BA94: D1ED0018 00CE2915
	v_cmp_u_f32_e64 s[38:39], v26, v26                         // 00000000BA9C: D0480026 0002351A
	v_add3_u32 v28, v26, v31, 1                                // 00000000BAA4: D1FF001C 02063F1A
	v_cndmask_b32_e64 v20, v28, v30, s[38:39]                  // 00000000BAAC: D1000014 009A3D1C
	v_cmp_u_f32_e64 s[38:39], v27, v27                         // 00000000BAB4: D0480026 0002371B
	v_add3_u32 v28, v27, v31, 1                                // 00000000BABC: D1FF001C 02063F1B
	v_cndmask_b32_e64 v21, v28, v30, s[38:39]                  // 00000000BAC4: D1000015 009A3D1C
	v_perm_b32 v25, v21, v20, s51                              // 00000000BACC: D1ED0019 00CE2915
	ds_write_b64 v5, v[24:25] offset:1152                      // 00000000BAD4: D89A0480 00001805
	v_mov_b32_e32 v24, v122                                    // 00000000BADC: 7E30037A
	v_mov_b32_e32 v25, v126                                    // 00000000BAE0: 7E32037E
	v_mov_b32_e32 v26, v130                                    // 00000000BAE4: 7E340382
	v_mov_b32_e32 v27, v134                                    // 00000000BAE8: 7E360386
	v_cmp_u_f32_e64 s[38:39], v24, v24                         // 00000000BAEC: D0480026 00023118
	v_add3_u32 v28, v24, v31, 1                                // 00000000BAF4: D1FF001C 02063F18
	v_cndmask_b32_e64 v20, v28, v30, s[38:39]                  // 00000000BAFC: D1000014 009A3D1C
	v_cmp_u_f32_e64 s[38:39], v25, v25                         // 00000000BB04: D0480026 00023319
	v_add3_u32 v28, v25, v31, 1                                // 00000000BB0C: D1FF001C 02063F19
	v_cndmask_b32_e64 v21, v28, v30, s[38:39]                  // 00000000BB14: D1000015 009A3D1C
	v_perm_b32 v24, v21, v20, s51                              // 00000000BB1C: D1ED0018 00CE2915
	v_cmp_u_f32_e64 s[38:39], v26, v26                         // 00000000BB24: D0480026 0002351A
	v_add3_u32 v28, v26, v31, 1                                // 00000000BB2C: D1FF001C 02063F1A
	v_cndmask_b32_e64 v20, v28, v30, s[38:39]                  // 00000000BB34: D1000014 009A3D1C
	v_cmp_u_f32_e64 s[38:39], v27, v27                         // 00000000BB3C: D0480026 0002371B
	v_add3_u32 v28, v27, v31, 1                                // 00000000BB44: D1FF001C 02063F1B
	v_cndmask_b32_e64 v21, v28, v30, s[38:39]                  // 00000000BB4C: D1000015 009A3D1C
	v_perm_b32 v25, v21, v20, s51                              // 00000000BB54: D1ED0019 00CE2915
	ds_write_b64 v5, v[24:25] offset:144                       // 00000000BB5C: D89A0090 00001805
	v_mov_b32_e32 v24, v123                                    // 00000000BB64: 7E30037B
	v_mov_b32_e32 v25, v127                                    // 00000000BB68: 7E32037F
	v_mov_b32_e32 v26, v131                                    // 00000000BB6C: 7E340383
	v_mov_b32_e32 v27, v135                                    // 00000000BB70: 7E360387
	v_cmp_u_f32_e64 s[38:39], v24, v24                         // 00000000BB74: D0480026 00023118
	v_add3_u32 v28, v24, v31, 1                                // 00000000BB7C: D1FF001C 02063F18
	v_cndmask_b32_e64 v20, v28, v30, s[38:39]                  // 00000000BB84: D1000014 009A3D1C
	v_cmp_u_f32_e64 s[38:39], v25, v25                         // 00000000BB8C: D0480026 00023319
	v_add3_u32 v28, v25, v31, 1                                // 00000000BB94: D1FF001C 02063F19
	v_cndmask_b32_e64 v21, v28, v30, s[38:39]                  // 00000000BB9C: D1000015 009A3D1C
	v_perm_b32 v24, v21, v20, s51                              // 00000000BBA4: D1ED0018 00CE2915
	v_cmp_u_f32_e64 s[38:39], v26, v26                         // 00000000BBAC: D0480026 0002351A
	v_add3_u32 v28, v26, v31, 1                                // 00000000BBB4: D1FF001C 02063F1A
	v_cndmask_b32_e64 v20, v28, v30, s[38:39]                  // 00000000BBBC: D1000014 009A3D1C
	v_cmp_u_f32_e64 s[38:39], v27, v27                         // 00000000BBC4: D0480026 0002371B
	v_add3_u32 v28, v27, v31, 1                                // 00000000BBCC: D1FF001C 02063F1B
	v_cndmask_b32_e64 v21, v28, v30, s[38:39]                  // 00000000BBD4: D1000015 009A3D1C
	v_perm_b32 v25, v21, v20, s51                              // 00000000BBDC: D1ED0019 00CE2915
	ds_write_b64 v5, v[24:25] offset:1296                      // 00000000BBE4: D89A0510 00001805
	v_mov_b32_e32 v24, v136                                    // 00000000BBEC: 7E300388
	v_mov_b32_e32 v25, v140                                    // 00000000BBF0: 7E32038C
	v_mov_b32_e32 v26, v144                                    // 00000000BBF4: 7E340390
	v_mov_b32_e32 v27, v148                                    // 00000000BBF8: 7E360394
	v_cmp_u_f32_e64 s[38:39], v24, v24                         // 00000000BBFC: D0480026 00023118
	v_add3_u32 v28, v24, v31, 1                                // 00000000BC04: D1FF001C 02063F18
	v_cndmask_b32_e64 v20, v28, v30, s[38:39]                  // 00000000BC0C: D1000014 009A3D1C
	v_cmp_u_f32_e64 s[38:39], v25, v25                         // 00000000BC14: D0480026 00023319
	v_add3_u32 v28, v25, v31, 1                                // 00000000BC1C: D1FF001C 02063F19
	v_cndmask_b32_e64 v21, v28, v30, s[38:39]                  // 00000000BC24: D1000015 009A3D1C
	v_perm_b32 v24, v21, v20, s51                              // 00000000BC2C: D1ED0018 00CE2915
	v_cmp_u_f32_e64 s[38:39], v26, v26                         // 00000000BC34: D0480026 0002351A
	v_add3_u32 v28, v26, v31, 1                                // 00000000BC3C: D1FF001C 02063F1A
	v_cndmask_b32_e64 v20, v28, v30, s[38:39]                  // 00000000BC44: D1000014 009A3D1C
	v_cmp_u_f32_e64 s[38:39], v27, v27                         // 00000000BC4C: D0480026 0002371B
	v_add3_u32 v28, v27, v31, 1                                // 00000000BC54: D1FF001C 02063F1B
	v_cndmask_b32_e64 v21, v28, v30, s[38:39]                  // 00000000BC5C: D1000015 009A3D1C
	v_perm_b32 v25, v21, v20, s51                              // 00000000BC64: D1ED0019 00CE2915
	ds_write_b64 v5, v[24:25] offset:2304                      // 00000000BC6C: D89A0900 00001805
	v_mov_b32_e32 v24, v137                                    // 00000000BC74: 7E300389
	v_mov_b32_e32 v25, v141                                    // 00000000BC78: 7E32038D
	v_mov_b32_e32 v26, v145                                    // 00000000BC7C: 7E340391
	v_mov_b32_e32 v27, v149                                    // 00000000BC80: 7E360395
	v_cmp_u_f32_e64 s[38:39], v24, v24                         // 00000000BC84: D0480026 00023118
	v_add3_u32 v28, v24, v31, 1                                // 00000000BC8C: D1FF001C 02063F18
	v_cndmask_b32_e64 v20, v28, v30, s[38:39]                  // 00000000BC94: D1000014 009A3D1C
	v_cmp_u_f32_e64 s[38:39], v25, v25                         // 00000000BC9C: D0480026 00023319
	v_add3_u32 v28, v25, v31, 1                                // 00000000BCA4: D1FF001C 02063F19
	v_cndmask_b32_e64 v21, v28, v30, s[38:39]                  // 00000000BCAC: D1000015 009A3D1C
	v_perm_b32 v24, v21, v20, s51                              // 00000000BCB4: D1ED0018 00CE2915
	v_cmp_u_f32_e64 s[38:39], v26, v26                         // 00000000BCBC: D0480026 0002351A
	v_add3_u32 v28, v26, v31, 1                                // 00000000BCC4: D1FF001C 02063F1A
	v_cndmask_b32_e64 v20, v28, v30, s[38:39]                  // 00000000BCCC: D1000014 009A3D1C
	v_cmp_u_f32_e64 s[38:39], v27, v27                         // 00000000BCD4: D0480026 0002371B
	v_add3_u32 v28, v27, v31, 1                                // 00000000BCDC: D1FF001C 02063F1B
	v_cndmask_b32_e64 v21, v28, v30, s[38:39]                  // 00000000BCE4: D1000015 009A3D1C
	v_perm_b32 v25, v21, v20, s51                              // 00000000BCEC: D1ED0019 00CE2915
	ds_write_b64 v5, v[24:25] offset:3456                      // 00000000BCF4: D89A0D80 00001805
	v_mov_b32_e32 v24, v138                                    // 00000000BCFC: 7E30038A
	v_mov_b32_e32 v25, v142                                    // 00000000BD00: 7E32038E
	v_mov_b32_e32 v26, v146                                    // 00000000BD04: 7E340392
	v_mov_b32_e32 v27, v150                                    // 00000000BD08: 7E360396
	v_cmp_u_f32_e64 s[38:39], v24, v24                         // 00000000BD0C: D0480026 00023118
	v_add3_u32 v28, v24, v31, 1                                // 00000000BD14: D1FF001C 02063F18
	v_cndmask_b32_e64 v20, v28, v30, s[38:39]                  // 00000000BD1C: D1000014 009A3D1C
	v_cmp_u_f32_e64 s[38:39], v25, v25                         // 00000000BD24: D0480026 00023319
	v_add3_u32 v28, v25, v31, 1                                // 00000000BD2C: D1FF001C 02063F19
	v_cndmask_b32_e64 v21, v28, v30, s[38:39]                  // 00000000BD34: D1000015 009A3D1C
	v_perm_b32 v24, v21, v20, s51                              // 00000000BD3C: D1ED0018 00CE2915
	v_cmp_u_f32_e64 s[38:39], v26, v26                         // 00000000BD44: D0480026 0002351A
	v_add3_u32 v28, v26, v31, 1                                // 00000000BD4C: D1FF001C 02063F1A
	v_cndmask_b32_e64 v20, v28, v30, s[38:39]                  // 00000000BD54: D1000014 009A3D1C
	v_cmp_u_f32_e64 s[38:39], v27, v27                         // 00000000BD5C: D0480026 0002371B
	v_add3_u32 v28, v27, v31, 1                                // 00000000BD64: D1FF001C 02063F1B
	v_cndmask_b32_e64 v21, v28, v30, s[38:39]                  // 00000000BD6C: D1000015 009A3D1C
	v_perm_b32 v25, v21, v20, s51                              // 00000000BD74: D1ED0019 00CE2915
	ds_write_b64 v5, v[24:25] offset:2448                      // 00000000BD7C: D89A0990 00001805
	v_mov_b32_e32 v24, v139                                    // 00000000BD84: 7E30038B
	v_mov_b32_e32 v25, v143                                    // 00000000BD88: 7E32038F
	v_mov_b32_e32 v26, v147                                    // 00000000BD8C: 7E340393
	v_mov_b32_e32 v27, v151                                    // 00000000BD90: 7E360397
	v_cmp_u_f32_e64 s[38:39], v24, v24                         // 00000000BD94: D0480026 00023118
	v_add3_u32 v28, v24, v31, 1                                // 00000000BD9C: D1FF001C 02063F18
	v_cndmask_b32_e64 v20, v28, v30, s[38:39]                  // 00000000BDA4: D1000014 009A3D1C
	v_cmp_u_f32_e64 s[38:39], v25, v25                         // 00000000BDAC: D0480026 00023319
	v_add3_u32 v28, v25, v31, 1                                // 00000000BDB4: D1FF001C 02063F19
	v_cndmask_b32_e64 v21, v28, v30, s[38:39]                  // 00000000BDBC: D1000015 009A3D1C
	v_perm_b32 v24, v21, v20, s51                              // 00000000BDC4: D1ED0018 00CE2915
	v_cmp_u_f32_e64 s[38:39], v26, v26                         // 00000000BDCC: D0480026 0002351A
	v_add3_u32 v28, v26, v31, 1                                // 00000000BDD4: D1FF001C 02063F1A
	v_cndmask_b32_e64 v20, v28, v30, s[38:39]                  // 00000000BDDC: D1000014 009A3D1C
	v_cmp_u_f32_e64 s[38:39], v27, v27                         // 00000000BDE4: D0480026 0002371B
	v_add3_u32 v28, v27, v31, 1                                // 00000000BDEC: D1FF001C 02063F1B
	v_cndmask_b32_e64 v21, v28, v30, s[38:39]                  // 00000000BDF4: D1000015 009A3D1C
	v_perm_b32 v25, v21, v20, s51                              // 00000000BDFC: D1ED0019 00CE2915
	ds_write_b64 v5, v[24:25] offset:3600                      // 00000000BE04: D89A0E10 00001805
	s_waitcnt lgkmcnt(4)                                       // 00000000BE0C: BF8CC47F
	ds_read_b64 v[56:57], v4                                   // 00000000BE10: D8EC0000 38000004
	ds_read_b64 v[60:61], v4 offset:64                         // 00000000BE18: D8EC0040 3C000004
	ds_read_b64 v[58:59], v4 offset:1152                       // 00000000BE20: D8EC0480 3A000004
	ds_read_b64 v[62:63], v4 offset:1216                       // 00000000BE28: D8EC04C0 3E000004
	s_waitcnt lgkmcnt(4)                                       // 00000000BE30: BF8CC47F
	ds_read_b64 v[64:65], v4 offset:2304                       // 00000000BE34: D8EC0900 40000004
	ds_read_b64 v[68:69], v4 offset:2368                       // 00000000BE3C: D8EC0940 44000004
	ds_read_b64 v[66:67], v4 offset:3456                       // 00000000BE44: D8EC0D80 42000004
	ds_read_b64 v[70:71], v4 offset:3520                       // 00000000BE4C: D8EC0DC0 46000004
	s_waitcnt lgkmcnt(0)                                       // 00000000BE54: BF8CC07F
	v_mov_b32_e32 v18, v19                                     // 00000000BE58: 7E240313
	buffer_store_dwordx4 v[56:59], v18, s[8:11], 0 offen offset:512// 00000000BE5C: E07C1200 80023812
	buffer_store_dwordx4 v[64:67], v18, s[8:11], 0 offen offset:640// 00000000BE64: E07C1280 80024012
	v_add_u32_e32 v18, 0x2000, v18                             // 00000000BE6C: 682424FF 00002000
	buffer_store_dwordx4 v[60:63], v18, s[8:11], 0 offen offset:512// 00000000BE74: E07C1200 80023C12
	buffer_store_dwordx4 v[68:71], v18, s[8:11], 0 offen offset:640// 00000000BE7C: E07C1280 80024412
	v_add_u32_e32 v18, 0x2000, v18                             // 00000000BE84: 682424FF 00002000
	v_mov_b32_e32 v24, v152                                    // 00000000BE8C: 7E300398
	v_accvgpr_read_b32 v25, a144                               // 00000000BE90: D3D84019 18000190
	v_accvgpr_read_b32 v26, a148                               // 00000000BE98: D3D8401A 18000194
	v_accvgpr_read_b32 v27, a152                               // 00000000BEA0: D3D8401B 18000198
	v_cmp_u_f32_e64 s[38:39], v24, v24                         // 00000000BEA8: D0480026 00023118
	v_add3_u32 v28, v24, v31, 1                                // 00000000BEB0: D1FF001C 02063F18
	v_cndmask_b32_e64 v20, v28, v30, s[38:39]                  // 00000000BEB8: D1000014 009A3D1C
	v_cmp_u_f32_e64 s[38:39], v25, v25                         // 00000000BEC0: D0480026 00023319
	v_add3_u32 v28, v25, v31, 1                                // 00000000BEC8: D1FF001C 02063F19
	v_cndmask_b32_e64 v21, v28, v30, s[38:39]                  // 00000000BED0: D1000015 009A3D1C
	v_perm_b32 v24, v21, v20, s51                              // 00000000BED8: D1ED0018 00CE2915
	v_cmp_u_f32_e64 s[38:39], v26, v26                         // 00000000BEE0: D0480026 0002351A
	v_add3_u32 v28, v26, v31, 1                                // 00000000BEE8: D1FF001C 02063F1A
	v_cndmask_b32_e64 v20, v28, v30, s[38:39]                  // 00000000BEF0: D1000014 009A3D1C
	v_cmp_u_f32_e64 s[38:39], v27, v27                         // 00000000BEF8: D0480026 0002371B
	v_add3_u32 v28, v27, v31, 1                                // 00000000BF00: D1FF001C 02063F1B
	v_cndmask_b32_e64 v21, v28, v30, s[38:39]                  // 00000000BF08: D1000015 009A3D1C
	v_perm_b32 v25, v21, v20, s51                              // 00000000BF10: D1ED0019 00CE2915
	ds_write_b64 v5, v[24:25]                                  // 00000000BF18: D89A0000 00001805
	v_mov_b32_e32 v24, v153                                    // 00000000BF20: 7E300399
	v_accvgpr_read_b32 v25, a145                               // 00000000BF24: D3D84019 18000191
	v_accvgpr_read_b32 v26, a149                               // 00000000BF2C: D3D8401A 18000195
	v_accvgpr_read_b32 v27, a153                               // 00000000BF34: D3D8401B 18000199
	v_cmp_u_f32_e64 s[38:39], v24, v24                         // 00000000BF3C: D0480026 00023118
	v_add3_u32 v28, v24, v31, 1                                // 00000000BF44: D1FF001C 02063F18
	v_cndmask_b32_e64 v20, v28, v30, s[38:39]                  // 00000000BF4C: D1000014 009A3D1C
	v_cmp_u_f32_e64 s[38:39], v25, v25                         // 00000000BF54: D0480026 00023319
	v_add3_u32 v28, v25, v31, 1                                // 00000000BF5C: D1FF001C 02063F19
	v_cndmask_b32_e64 v21, v28, v30, s[38:39]                  // 00000000BF64: D1000015 009A3D1C
	v_perm_b32 v24, v21, v20, s51                              // 00000000BF6C: D1ED0018 00CE2915
	v_cmp_u_f32_e64 s[38:39], v26, v26                         // 00000000BF74: D0480026 0002351A
	v_add3_u32 v28, v26, v31, 1                                // 00000000BF7C: D1FF001C 02063F1A
	v_cndmask_b32_e64 v20, v28, v30, s[38:39]                  // 00000000BF84: D1000014 009A3D1C
	v_cmp_u_f32_e64 s[38:39], v27, v27                         // 00000000BF8C: D0480026 0002371B
	v_add3_u32 v28, v27, v31, 1                                // 00000000BF94: D1FF001C 02063F1B
	v_cndmask_b32_e64 v21, v28, v30, s[38:39]                  // 00000000BF9C: D1000015 009A3D1C
	v_perm_b32 v25, v21, v20, s51                              // 00000000BFA4: D1ED0019 00CE2915
	ds_write_b64 v5, v[24:25] offset:1152                      // 00000000BFAC: D89A0480 00001805
	v_mov_b32_e32 v24, v154                                    // 00000000BFB4: 7E30039A
	v_accvgpr_read_b32 v25, a146                               // 00000000BFB8: D3D84019 18000192
	v_accvgpr_read_b32 v26, a150                               // 00000000BFC0: D3D8401A 18000196
	v_accvgpr_read_b32 v27, a154                               // 00000000BFC8: D3D8401B 1800019A
	v_cmp_u_f32_e64 s[38:39], v24, v24                         // 00000000BFD0: D0480026 00023118
	v_add3_u32 v28, v24, v31, 1                                // 00000000BFD8: D1FF001C 02063F18
	v_cndmask_b32_e64 v20, v28, v30, s[38:39]                  // 00000000BFE0: D1000014 009A3D1C
	v_cmp_u_f32_e64 s[38:39], v25, v25                         // 00000000BFE8: D0480026 00023319
	v_add3_u32 v28, v25, v31, 1                                // 00000000BFF0: D1FF001C 02063F19
	v_cndmask_b32_e64 v21, v28, v30, s[38:39]                  // 00000000BFF8: D1000015 009A3D1C
	v_perm_b32 v24, v21, v20, s51                              // 00000000C000: D1ED0018 00CE2915
	v_cmp_u_f32_e64 s[38:39], v26, v26                         // 00000000C008: D0480026 0002351A
	v_add3_u32 v28, v26, v31, 1                                // 00000000C010: D1FF001C 02063F1A
	v_cndmask_b32_e64 v20, v28, v30, s[38:39]                  // 00000000C018: D1000014 009A3D1C
	v_cmp_u_f32_e64 s[38:39], v27, v27                         // 00000000C020: D0480026 0002371B
	v_add3_u32 v28, v27, v31, 1                                // 00000000C028: D1FF001C 02063F1B
	v_cndmask_b32_e64 v21, v28, v30, s[38:39]                  // 00000000C030: D1000015 009A3D1C
	v_perm_b32 v25, v21, v20, s51                              // 00000000C038: D1ED0019 00CE2915
	ds_write_b64 v5, v[24:25] offset:144                       // 00000000C040: D89A0090 00001805
	v_mov_b32_e32 v24, v155                                    // 00000000C048: 7E30039B
	v_accvgpr_read_b32 v25, a147                               // 00000000C04C: D3D84019 18000193
	v_accvgpr_read_b32 v26, a151                               // 00000000C054: D3D8401A 18000197
	v_accvgpr_read_b32 v27, a155                               // 00000000C05C: D3D8401B 1800019B
	v_cmp_u_f32_e64 s[38:39], v24, v24                         // 00000000C064: D0480026 00023118
	v_add3_u32 v28, v24, v31, 1                                // 00000000C06C: D1FF001C 02063F18
	v_cndmask_b32_e64 v20, v28, v30, s[38:39]                  // 00000000C074: D1000014 009A3D1C
	v_cmp_u_f32_e64 s[38:39], v25, v25                         // 00000000C07C: D0480026 00023319
	v_add3_u32 v28, v25, v31, 1                                // 00000000C084: D1FF001C 02063F19
	v_cndmask_b32_e64 v21, v28, v30, s[38:39]                  // 00000000C08C: D1000015 009A3D1C
	v_perm_b32 v24, v21, v20, s51                              // 00000000C094: D1ED0018 00CE2915
	v_cmp_u_f32_e64 s[38:39], v26, v26                         // 00000000C09C: D0480026 0002351A
	v_add3_u32 v28, v26, v31, 1                                // 00000000C0A4: D1FF001C 02063F1A
	v_cndmask_b32_e64 v20, v28, v30, s[38:39]                  // 00000000C0AC: D1000014 009A3D1C
	v_cmp_u_f32_e64 s[38:39], v27, v27                         // 00000000C0B4: D0480026 0002371B
	v_add3_u32 v28, v27, v31, 1                                // 00000000C0BC: D1FF001C 02063F1B
	v_cndmask_b32_e64 v21, v28, v30, s[38:39]                  // 00000000C0C4: D1000015 009A3D1C
	v_perm_b32 v25, v21, v20, s51                              // 00000000C0CC: D1ED0019 00CE2915
	ds_write_b64 v5, v[24:25] offset:1296                      // 00000000C0D4: D89A0510 00001805
	v_accvgpr_read_b32 v24, a156                               // 00000000C0DC: D3D84018 1800019C
	v_accvgpr_read_b32 v25, a160                               // 00000000C0E4: D3D84019 180001A0
	v_accvgpr_read_b32 v26, a164                               // 00000000C0EC: D3D8401A 180001A4
	v_accvgpr_read_b32 v27, a168                               // 00000000C0F4: D3D8401B 180001A8
	v_cmp_u_f32_e64 s[38:39], v24, v24                         // 00000000C0FC: D0480026 00023118
	v_add3_u32 v28, v24, v31, 1                                // 00000000C104: D1FF001C 02063F18
	v_cndmask_b32_e64 v20, v28, v30, s[38:39]                  // 00000000C10C: D1000014 009A3D1C
	v_cmp_u_f32_e64 s[38:39], v25, v25                         // 00000000C114: D0480026 00023319
	v_add3_u32 v28, v25, v31, 1                                // 00000000C11C: D1FF001C 02063F19
	v_cndmask_b32_e64 v21, v28, v30, s[38:39]                  // 00000000C124: D1000015 009A3D1C
	v_perm_b32 v24, v21, v20, s51                              // 00000000C12C: D1ED0018 00CE2915
	v_cmp_u_f32_e64 s[38:39], v26, v26                         // 00000000C134: D0480026 0002351A
	v_add3_u32 v28, v26, v31, 1                                // 00000000C13C: D1FF001C 02063F1A
	v_cndmask_b32_e64 v20, v28, v30, s[38:39]                  // 00000000C144: D1000014 009A3D1C
	v_cmp_u_f32_e64 s[38:39], v27, v27                         // 00000000C14C: D0480026 0002371B
	v_add3_u32 v28, v27, v31, 1                                // 00000000C154: D1FF001C 02063F1B
	v_cndmask_b32_e64 v21, v28, v30, s[38:39]                  // 00000000C15C: D1000015 009A3D1C
	v_perm_b32 v25, v21, v20, s51                              // 00000000C164: D1ED0019 00CE2915
	ds_write_b64 v5, v[24:25] offset:2304                      // 00000000C16C: D89A0900 00001805
	v_accvgpr_read_b32 v24, a157                               // 00000000C174: D3D84018 1800019D
	v_accvgpr_read_b32 v25, a161                               // 00000000C17C: D3D84019 180001A1
	v_accvgpr_read_b32 v26, a165                               // 00000000C184: D3D8401A 180001A5
	v_accvgpr_read_b32 v27, a169                               // 00000000C18C: D3D8401B 180001A9
	v_cmp_u_f32_e64 s[38:39], v24, v24                         // 00000000C194: D0480026 00023118
	v_add3_u32 v28, v24, v31, 1                                // 00000000C19C: D1FF001C 02063F18
	v_cndmask_b32_e64 v20, v28, v30, s[38:39]                  // 00000000C1A4: D1000014 009A3D1C
	v_cmp_u_f32_e64 s[38:39], v25, v25                         // 00000000C1AC: D0480026 00023319
	v_add3_u32 v28, v25, v31, 1                                // 00000000C1B4: D1FF001C 02063F19
	v_cndmask_b32_e64 v21, v28, v30, s[38:39]                  // 00000000C1BC: D1000015 009A3D1C
	v_perm_b32 v24, v21, v20, s51                              // 00000000C1C4: D1ED0018 00CE2915
	v_cmp_u_f32_e64 s[38:39], v26, v26                         // 00000000C1CC: D0480026 0002351A
	v_add3_u32 v28, v26, v31, 1                                // 00000000C1D4: D1FF001C 02063F1A
	v_cndmask_b32_e64 v20, v28, v30, s[38:39]                  // 00000000C1DC: D1000014 009A3D1C
	v_cmp_u_f32_e64 s[38:39], v27, v27                         // 00000000C1E4: D0480026 0002371B
	v_add3_u32 v28, v27, v31, 1                                // 00000000C1EC: D1FF001C 02063F1B
	v_cndmask_b32_e64 v21, v28, v30, s[38:39]                  // 00000000C1F4: D1000015 009A3D1C
	v_perm_b32 v25, v21, v20, s51                              // 00000000C1FC: D1ED0019 00CE2915
	ds_write_b64 v5, v[24:25] offset:3456                      // 00000000C204: D89A0D80 00001805
	v_accvgpr_read_b32 v24, a158                               // 00000000C20C: D3D84018 1800019E
	v_accvgpr_read_b32 v25, a162                               // 00000000C214: D3D84019 180001A2
	v_accvgpr_read_b32 v26, a166                               // 00000000C21C: D3D8401A 180001A6
	v_accvgpr_read_b32 v27, a170                               // 00000000C224: D3D8401B 180001AA
	v_cmp_u_f32_e64 s[38:39], v24, v24                         // 00000000C22C: D0480026 00023118
	v_add3_u32 v28, v24, v31, 1                                // 00000000C234: D1FF001C 02063F18
	v_cndmask_b32_e64 v20, v28, v30, s[38:39]                  // 00000000C23C: D1000014 009A3D1C
	v_cmp_u_f32_e64 s[38:39], v25, v25                         // 00000000C244: D0480026 00023319
	v_add3_u32 v28, v25, v31, 1                                // 00000000C24C: D1FF001C 02063F19
	v_cndmask_b32_e64 v21, v28, v30, s[38:39]                  // 00000000C254: D1000015 009A3D1C
	v_perm_b32 v24, v21, v20, s51                              // 00000000C25C: D1ED0018 00CE2915
	v_cmp_u_f32_e64 s[38:39], v26, v26                         // 00000000C264: D0480026 0002351A
	v_add3_u32 v28, v26, v31, 1                                // 00000000C26C: D1FF001C 02063F1A
	v_cndmask_b32_e64 v20, v28, v30, s[38:39]                  // 00000000C274: D1000014 009A3D1C
	v_cmp_u_f32_e64 s[38:39], v27, v27                         // 00000000C27C: D0480026 0002371B
	v_add3_u32 v28, v27, v31, 1                                // 00000000C284: D1FF001C 02063F1B
	v_cndmask_b32_e64 v21, v28, v30, s[38:39]                  // 00000000C28C: D1000015 009A3D1C
	v_perm_b32 v25, v21, v20, s51                              // 00000000C294: D1ED0019 00CE2915
	ds_write_b64 v5, v[24:25] offset:2448                      // 00000000C29C: D89A0990 00001805
	v_accvgpr_read_b32 v24, a159                               // 00000000C2A4: D3D84018 1800019F
	v_accvgpr_read_b32 v25, a163                               // 00000000C2AC: D3D84019 180001A3
	v_accvgpr_read_b32 v26, a167                               // 00000000C2B4: D3D8401A 180001A7
	v_accvgpr_read_b32 v27, a171                               // 00000000C2BC: D3D8401B 180001AB
	v_cmp_u_f32_e64 s[38:39], v24, v24                         // 00000000C2C4: D0480026 00023118
	v_add3_u32 v28, v24, v31, 1                                // 00000000C2CC: D1FF001C 02063F18
	v_cndmask_b32_e64 v20, v28, v30, s[38:39]                  // 00000000C2D4: D1000014 009A3D1C
	v_cmp_u_f32_e64 s[38:39], v25, v25                         // 00000000C2DC: D0480026 00023319
	v_add3_u32 v28, v25, v31, 1                                // 00000000C2E4: D1FF001C 02063F19
	v_cndmask_b32_e64 v21, v28, v30, s[38:39]                  // 00000000C2EC: D1000015 009A3D1C
	v_perm_b32 v24, v21, v20, s51                              // 00000000C2F4: D1ED0018 00CE2915
	v_cmp_u_f32_e64 s[38:39], v26, v26                         // 00000000C2FC: D0480026 0002351A
	v_add3_u32 v28, v26, v31, 1                                // 00000000C304: D1FF001C 02063F1A
	v_cndmask_b32_e64 v20, v28, v30, s[38:39]                  // 00000000C30C: D1000014 009A3D1C
	v_cmp_u_f32_e64 s[38:39], v27, v27                         // 00000000C314: D0480026 0002371B
	v_add3_u32 v28, v27, v31, 1                                // 00000000C31C: D1FF001C 02063F1B
	v_cndmask_b32_e64 v21, v28, v30, s[38:39]                  // 00000000C324: D1000015 009A3D1C
	v_perm_b32 v25, v21, v20, s51                              // 00000000C32C: D1ED0019 00CE2915
	ds_write_b64 v5, v[24:25] offset:3600                      // 00000000C334: D89A0E10 00001805
	s_waitcnt lgkmcnt(4)                                       // 00000000C33C: BF8CC47F
	ds_read_b64 v[56:57], v4                                   // 00000000C340: D8EC0000 38000004
	ds_read_b64 v[60:61], v4 offset:64                         // 00000000C348: D8EC0040 3C000004
	ds_read_b64 v[58:59], v4 offset:1152                       // 00000000C350: D8EC0480 3A000004
	ds_read_b64 v[62:63], v4 offset:1216                       // 00000000C358: D8EC04C0 3E000004
	s_waitcnt lgkmcnt(4)                                       // 00000000C360: BF8CC47F
	ds_read_b64 v[64:65], v4 offset:2304                       // 00000000C364: D8EC0900 40000004
	ds_read_b64 v[68:69], v4 offset:2368                       // 00000000C36C: D8EC0940 44000004
	ds_read_b64 v[66:67], v4 offset:3456                       // 00000000C374: D8EC0D80 42000004
	ds_read_b64 v[70:71], v4 offset:3520                       // 00000000C37C: D8EC0DC0 46000004
	s_waitcnt lgkmcnt(0)                                       // 00000000C384: BF8CC07F
	v_mov_b32_e32 v18, v19                                     // 00000000C388: 7E240313
	buffer_store_dwordx4 v[56:59], v18, s[8:11], 0 offen offset:768// 00000000C38C: E07C1300 80023812
	buffer_store_dwordx4 v[64:67], v18, s[8:11], 0 offen offset:896// 00000000C394: E07C1380 80024012
	v_add_u32_e32 v18, 0x2000, v18                             // 00000000C39C: 682424FF 00002000
	buffer_store_dwordx4 v[60:63], v18, s[8:11], 0 offen offset:768// 00000000C3A4: E07C1300 80023C12
	buffer_store_dwordx4 v[68:71], v18, s[8:11], 0 offen offset:896// 00000000C3AC: E07C1380 80024412
	v_add_u32_e32 v18, 0x2000, v18                             // 00000000C3B4: 682424FF 00002000
	s_mov_b32 s56, 0x10000                                     // 00000000C3BC: BEB800FF 00010000
	v_add_u32_e64 v19, v19, s56                                // 00000000C3C4: D1340013 00007113
	v_mov_b32_e32 v24, v156                                    // 00000000C3CC: 7E30039C
	v_mov_b32_e32 v25, v160                                    // 00000000C3D0: 7E3203A0
	v_mov_b32_e32 v26, v164                                    // 00000000C3D4: 7E3403A4
	v_mov_b32_e32 v27, v168                                    // 00000000C3D8: 7E3603A8
	v_cmp_u_f32_e64 s[38:39], v24, v24                         // 00000000C3DC: D0480026 00023118
	v_add3_u32 v28, v24, v31, 1                                // 00000000C3E4: D1FF001C 02063F18
	v_cndmask_b32_e64 v20, v28, v30, s[38:39]                  // 00000000C3EC: D1000014 009A3D1C
	v_cmp_u_f32_e64 s[38:39], v25, v25                         // 00000000C3F4: D0480026 00023319
	v_add3_u32 v28, v25, v31, 1                                // 00000000C3FC: D1FF001C 02063F19
	v_cndmask_b32_e64 v21, v28, v30, s[38:39]                  // 00000000C404: D1000015 009A3D1C
	v_perm_b32 v24, v21, v20, s51                              // 00000000C40C: D1ED0018 00CE2915
	v_cmp_u_f32_e64 s[38:39], v26, v26                         // 00000000C414: D0480026 0002351A
	v_add3_u32 v28, v26, v31, 1                                // 00000000C41C: D1FF001C 02063F1A
	v_cndmask_b32_e64 v20, v28, v30, s[38:39]                  // 00000000C424: D1000014 009A3D1C
	v_cmp_u_f32_e64 s[38:39], v27, v27                         // 00000000C42C: D0480026 0002371B
	v_add3_u32 v28, v27, v31, 1                                // 00000000C434: D1FF001C 02063F1B
	v_cndmask_b32_e64 v21, v28, v30, s[38:39]                  // 00000000C43C: D1000015 009A3D1C
	v_perm_b32 v25, v21, v20, s51                              // 00000000C444: D1ED0019 00CE2915
	ds_write_b64 v5, v[24:25]                                  // 00000000C44C: D89A0000 00001805
	v_mov_b32_e32 v24, v157                                    // 00000000C454: 7E30039D
	v_mov_b32_e32 v25, v161                                    // 00000000C458: 7E3203A1
	v_mov_b32_e32 v26, v165                                    // 00000000C45C: 7E3403A5
	v_mov_b32_e32 v27, v169                                    // 00000000C460: 7E3603A9
	v_cmp_u_f32_e64 s[38:39], v24, v24                         // 00000000C464: D0480026 00023118
	v_add3_u32 v28, v24, v31, 1                                // 00000000C46C: D1FF001C 02063F18
	v_cndmask_b32_e64 v20, v28, v30, s[38:39]                  // 00000000C474: D1000014 009A3D1C
	v_cmp_u_f32_e64 s[38:39], v25, v25                         // 00000000C47C: D0480026 00023319
	v_add3_u32 v28, v25, v31, 1                                // 00000000C484: D1FF001C 02063F19
	v_cndmask_b32_e64 v21, v28, v30, s[38:39]                  // 00000000C48C: D1000015 009A3D1C
	v_perm_b32 v24, v21, v20, s51                              // 00000000C494: D1ED0018 00CE2915
	v_cmp_u_f32_e64 s[38:39], v26, v26                         // 00000000C49C: D0480026 0002351A
	v_add3_u32 v28, v26, v31, 1                                // 00000000C4A4: D1FF001C 02063F1A
	v_cndmask_b32_e64 v20, v28, v30, s[38:39]                  // 00000000C4AC: D1000014 009A3D1C
	v_cmp_u_f32_e64 s[38:39], v27, v27                         // 00000000C4B4: D0480026 0002371B
	v_add3_u32 v28, v27, v31, 1                                // 00000000C4BC: D1FF001C 02063F1B
	v_cndmask_b32_e64 v21, v28, v30, s[38:39]                  // 00000000C4C4: D1000015 009A3D1C
	v_perm_b32 v25, v21, v20, s51                              // 00000000C4CC: D1ED0019 00CE2915
	ds_write_b64 v5, v[24:25] offset:1152                      // 00000000C4D4: D89A0480 00001805
	v_mov_b32_e32 v24, v158                                    // 00000000C4DC: 7E30039E
	v_mov_b32_e32 v25, v162                                    // 00000000C4E0: 7E3203A2
	v_mov_b32_e32 v26, v166                                    // 00000000C4E4: 7E3403A6
	v_mov_b32_e32 v27, v170                                    // 00000000C4E8: 7E3603AA
	v_cmp_u_f32_e64 s[38:39], v24, v24                         // 00000000C4EC: D0480026 00023118
	v_add3_u32 v28, v24, v31, 1                                // 00000000C4F4: D1FF001C 02063F18
	v_cndmask_b32_e64 v20, v28, v30, s[38:39]                  // 00000000C4FC: D1000014 009A3D1C
	v_cmp_u_f32_e64 s[38:39], v25, v25                         // 00000000C504: D0480026 00023319
	v_add3_u32 v28, v25, v31, 1                                // 00000000C50C: D1FF001C 02063F19
	v_cndmask_b32_e64 v21, v28, v30, s[38:39]                  // 00000000C514: D1000015 009A3D1C
	v_perm_b32 v24, v21, v20, s51                              // 00000000C51C: D1ED0018 00CE2915
	v_cmp_u_f32_e64 s[38:39], v26, v26                         // 00000000C524: D0480026 0002351A
	v_add3_u32 v28, v26, v31, 1                                // 00000000C52C: D1FF001C 02063F1A
	v_cndmask_b32_e64 v20, v28, v30, s[38:39]                  // 00000000C534: D1000014 009A3D1C
	v_cmp_u_f32_e64 s[38:39], v27, v27                         // 00000000C53C: D0480026 0002371B
	v_add3_u32 v28, v27, v31, 1                                // 00000000C544: D1FF001C 02063F1B
	v_cndmask_b32_e64 v21, v28, v30, s[38:39]                  // 00000000C54C: D1000015 009A3D1C
	v_perm_b32 v25, v21, v20, s51                              // 00000000C554: D1ED0019 00CE2915
	ds_write_b64 v5, v[24:25] offset:144                       // 00000000C55C: D89A0090 00001805
	v_mov_b32_e32 v24, v159                                    // 00000000C564: 7E30039F
	v_mov_b32_e32 v25, v163                                    // 00000000C568: 7E3203A3
	v_mov_b32_e32 v26, v167                                    // 00000000C56C: 7E3403A7
	v_mov_b32_e32 v27, v171                                    // 00000000C570: 7E3603AB
	v_cmp_u_f32_e64 s[38:39], v24, v24                         // 00000000C574: D0480026 00023118
	v_add3_u32 v28, v24, v31, 1                                // 00000000C57C: D1FF001C 02063F18
	v_cndmask_b32_e64 v20, v28, v30, s[38:39]                  // 00000000C584: D1000014 009A3D1C
	v_cmp_u_f32_e64 s[38:39], v25, v25                         // 00000000C58C: D0480026 00023319
	v_add3_u32 v28, v25, v31, 1                                // 00000000C594: D1FF001C 02063F19
	v_cndmask_b32_e64 v21, v28, v30, s[38:39]                  // 00000000C59C: D1000015 009A3D1C
	v_perm_b32 v24, v21, v20, s51                              // 00000000C5A4: D1ED0018 00CE2915
	v_cmp_u_f32_e64 s[38:39], v26, v26                         // 00000000C5AC: D0480026 0002351A
	v_add3_u32 v28, v26, v31, 1                                // 00000000C5B4: D1FF001C 02063F1A
	v_cndmask_b32_e64 v20, v28, v30, s[38:39]                  // 00000000C5BC: D1000014 009A3D1C
	v_cmp_u_f32_e64 s[38:39], v27, v27                         // 00000000C5C4: D0480026 0002371B
	v_add3_u32 v28, v27, v31, 1                                // 00000000C5CC: D1FF001C 02063F1B
	v_cndmask_b32_e64 v21, v28, v30, s[38:39]                  // 00000000C5D4: D1000015 009A3D1C
	v_perm_b32 v25, v21, v20, s51                              // 00000000C5DC: D1ED0019 00CE2915
	ds_write_b64 v5, v[24:25] offset:1296                      // 00000000C5E4: D89A0510 00001805
	v_mov_b32_e32 v24, v172                                    // 00000000C5EC: 7E3003AC
	v_mov_b32_e32 v25, v176                                    // 00000000C5F0: 7E3203B0
	v_mov_b32_e32 v26, v180                                    // 00000000C5F4: 7E3403B4
	v_mov_b32_e32 v27, v184                                    // 00000000C5F8: 7E3603B8
	v_cmp_u_f32_e64 s[38:39], v24, v24                         // 00000000C5FC: D0480026 00023118
	v_add3_u32 v28, v24, v31, 1                                // 00000000C604: D1FF001C 02063F18
	v_cndmask_b32_e64 v20, v28, v30, s[38:39]                  // 00000000C60C: D1000014 009A3D1C
	v_cmp_u_f32_e64 s[38:39], v25, v25                         // 00000000C614: D0480026 00023319
	v_add3_u32 v28, v25, v31, 1                                // 00000000C61C: D1FF001C 02063F19
	v_cndmask_b32_e64 v21, v28, v30, s[38:39]                  // 00000000C624: D1000015 009A3D1C
	v_perm_b32 v24, v21, v20, s51                              // 00000000C62C: D1ED0018 00CE2915
	v_cmp_u_f32_e64 s[38:39], v26, v26                         // 00000000C634: D0480026 0002351A
	v_add3_u32 v28, v26, v31, 1                                // 00000000C63C: D1FF001C 02063F1A
	v_cndmask_b32_e64 v20, v28, v30, s[38:39]                  // 00000000C644: D1000014 009A3D1C
	v_cmp_u_f32_e64 s[38:39], v27, v27                         // 00000000C64C: D0480026 0002371B
	v_add3_u32 v28, v27, v31, 1                                // 00000000C654: D1FF001C 02063F1B
	v_cndmask_b32_e64 v21, v28, v30, s[38:39]                  // 00000000C65C: D1000015 009A3D1C
	v_perm_b32 v25, v21, v20, s51                              // 00000000C664: D1ED0019 00CE2915
	ds_write_b64 v5, v[24:25] offset:2304                      // 00000000C66C: D89A0900 00001805
	v_mov_b32_e32 v24, v173                                    // 00000000C674: 7E3003AD
	v_mov_b32_e32 v25, v177                                    // 00000000C678: 7E3203B1
	v_mov_b32_e32 v26, v181                                    // 00000000C67C: 7E3403B5
	v_mov_b32_e32 v27, v185                                    // 00000000C680: 7E3603B9
	v_cmp_u_f32_e64 s[38:39], v24, v24                         // 00000000C684: D0480026 00023118
	v_add3_u32 v28, v24, v31, 1                                // 00000000C68C: D1FF001C 02063F18
	v_cndmask_b32_e64 v20, v28, v30, s[38:39]                  // 00000000C694: D1000014 009A3D1C
	v_cmp_u_f32_e64 s[38:39], v25, v25                         // 00000000C69C: D0480026 00023319
	v_add3_u32 v28, v25, v31, 1                                // 00000000C6A4: D1FF001C 02063F19
	v_cndmask_b32_e64 v21, v28, v30, s[38:39]                  // 00000000C6AC: D1000015 009A3D1C
	v_perm_b32 v24, v21, v20, s51                              // 00000000C6B4: D1ED0018 00CE2915
	v_cmp_u_f32_e64 s[38:39], v26, v26                         // 00000000C6BC: D0480026 0002351A
	v_add3_u32 v28, v26, v31, 1                                // 00000000C6C4: D1FF001C 02063F1A
	v_cndmask_b32_e64 v20, v28, v30, s[38:39]                  // 00000000C6CC: D1000014 009A3D1C
	v_cmp_u_f32_e64 s[38:39], v27, v27                         // 00000000C6D4: D0480026 0002371B
	v_add3_u32 v28, v27, v31, 1                                // 00000000C6DC: D1FF001C 02063F1B
	v_cndmask_b32_e64 v21, v28, v30, s[38:39]                  // 00000000C6E4: D1000015 009A3D1C
	v_perm_b32 v25, v21, v20, s51                              // 00000000C6EC: D1ED0019 00CE2915
	ds_write_b64 v5, v[24:25] offset:3456                      // 00000000C6F4: D89A0D80 00001805
	v_mov_b32_e32 v24, v174                                    // 00000000C6FC: 7E3003AE
	v_mov_b32_e32 v25, v178                                    // 00000000C700: 7E3203B2
	v_mov_b32_e32 v26, v182                                    // 00000000C704: 7E3403B6
	v_mov_b32_e32 v27, v186                                    // 00000000C708: 7E3603BA
	v_cmp_u_f32_e64 s[38:39], v24, v24                         // 00000000C70C: D0480026 00023118
	v_add3_u32 v28, v24, v31, 1                                // 00000000C714: D1FF001C 02063F18
	v_cndmask_b32_e64 v20, v28, v30, s[38:39]                  // 00000000C71C: D1000014 009A3D1C
	v_cmp_u_f32_e64 s[38:39], v25, v25                         // 00000000C724: D0480026 00023319
	v_add3_u32 v28, v25, v31, 1                                // 00000000C72C: D1FF001C 02063F19
	v_cndmask_b32_e64 v21, v28, v30, s[38:39]                  // 00000000C734: D1000015 009A3D1C
	v_perm_b32 v24, v21, v20, s51                              // 00000000C73C: D1ED0018 00CE2915
	v_cmp_u_f32_e64 s[38:39], v26, v26                         // 00000000C744: D0480026 0002351A
	v_add3_u32 v28, v26, v31, 1                                // 00000000C74C: D1FF001C 02063F1A
	v_cndmask_b32_e64 v20, v28, v30, s[38:39]                  // 00000000C754: D1000014 009A3D1C
	v_cmp_u_f32_e64 s[38:39], v27, v27                         // 00000000C75C: D0480026 0002371B
	v_add3_u32 v28, v27, v31, 1                                // 00000000C764: D1FF001C 02063F1B
	v_cndmask_b32_e64 v21, v28, v30, s[38:39]                  // 00000000C76C: D1000015 009A3D1C
	v_perm_b32 v25, v21, v20, s51                              // 00000000C774: D1ED0019 00CE2915
	ds_write_b64 v5, v[24:25] offset:2448                      // 00000000C77C: D89A0990 00001805
	v_mov_b32_e32 v24, v175                                    // 00000000C784: 7E3003AF
	v_mov_b32_e32 v25, v179                                    // 00000000C788: 7E3203B3
	v_mov_b32_e32 v26, v183                                    // 00000000C78C: 7E3403B7
	v_mov_b32_e32 v27, v187                                    // 00000000C790: 7E3603BB
	v_cmp_u_f32_e64 s[38:39], v24, v24                         // 00000000C794: D0480026 00023118
	v_add3_u32 v28, v24, v31, 1                                // 00000000C79C: D1FF001C 02063F18
	v_cndmask_b32_e64 v20, v28, v30, s[38:39]                  // 00000000C7A4: D1000014 009A3D1C
	v_cmp_u_f32_e64 s[38:39], v25, v25                         // 00000000C7AC: D0480026 00023319
	v_add3_u32 v28, v25, v31, 1                                // 00000000C7B4: D1FF001C 02063F19
	v_cndmask_b32_e64 v21, v28, v30, s[38:39]                  // 00000000C7BC: D1000015 009A3D1C
	v_perm_b32 v24, v21, v20, s51                              // 00000000C7C4: D1ED0018 00CE2915
	v_cmp_u_f32_e64 s[38:39], v26, v26                         // 00000000C7CC: D0480026 0002351A
	v_add3_u32 v28, v26, v31, 1                                // 00000000C7D4: D1FF001C 02063F1A
	v_cndmask_b32_e64 v20, v28, v30, s[38:39]                  // 00000000C7DC: D1000014 009A3D1C
	v_cmp_u_f32_e64 s[38:39], v27, v27                         // 00000000C7E4: D0480026 0002371B
	v_add3_u32 v28, v27, v31, 1                                // 00000000C7EC: D1FF001C 02063F1B
	v_cndmask_b32_e64 v21, v28, v30, s[38:39]                  // 00000000C7F4: D1000015 009A3D1C
	v_perm_b32 v25, v21, v20, s51                              // 00000000C7FC: D1ED0019 00CE2915
	ds_write_b64 v5, v[24:25] offset:3600                      // 00000000C804: D89A0E10 00001805
	s_waitcnt lgkmcnt(4)                                       // 00000000C80C: BF8CC47F
	ds_read_b64 v[56:57], v4                                   // 00000000C810: D8EC0000 38000004
	ds_read_b64 v[60:61], v4 offset:64                         // 00000000C818: D8EC0040 3C000004
	ds_read_b64 v[58:59], v4 offset:1152                       // 00000000C820: D8EC0480 3A000004
	ds_read_b64 v[62:63], v4 offset:1216                       // 00000000C828: D8EC04C0 3E000004
	s_waitcnt lgkmcnt(4)                                       // 00000000C830: BF8CC47F
	ds_read_b64 v[64:65], v4 offset:2304                       // 00000000C834: D8EC0900 40000004
	ds_read_b64 v[68:69], v4 offset:2368                       // 00000000C83C: D8EC0940 44000004
	ds_read_b64 v[66:67], v4 offset:3456                       // 00000000C844: D8EC0D80 42000004
	ds_read_b64 v[70:71], v4 offset:3520                       // 00000000C84C: D8EC0DC0 46000004
	s_waitcnt lgkmcnt(0)                                       // 00000000C854: BF8CC07F
	v_mov_b32_e32 v18, v19                                     // 00000000C858: 7E240313
	buffer_store_dwordx4 v[56:59], v18, s[8:11], 0 offen       // 00000000C85C: E07C1000 80023812
	buffer_store_dwordx4 v[64:67], v18, s[8:11], 0 offen offset:128// 00000000C864: E07C1080 80024012
	v_add_u32_e32 v18, 0x2000, v18                             // 00000000C86C: 682424FF 00002000
	buffer_store_dwordx4 v[60:63], v18, s[8:11], 0 offen       // 00000000C874: E07C1000 80023C12
	buffer_store_dwordx4 v[68:71], v18, s[8:11], 0 offen offset:128// 00000000C87C: E07C1080 80024412
	v_add_u32_e32 v18, 0x2000, v18                             // 00000000C884: 682424FF 00002000
	v_mov_b32_e32 v24, v188                                    // 00000000C88C: 7E3003BC
	v_mov_b32_e32 v25, v192                                    // 00000000C890: 7E3203C0
	v_mov_b32_e32 v26, v196                                    // 00000000C894: 7E3403C4
	v_mov_b32_e32 v27, v200                                    // 00000000C898: 7E3603C8
	v_cmp_u_f32_e64 s[38:39], v24, v24                         // 00000000C89C: D0480026 00023118
	v_add3_u32 v28, v24, v31, 1                                // 00000000C8A4: D1FF001C 02063F18
	v_cndmask_b32_e64 v20, v28, v30, s[38:39]                  // 00000000C8AC: D1000014 009A3D1C
	v_cmp_u_f32_e64 s[38:39], v25, v25                         // 00000000C8B4: D0480026 00023319
	v_add3_u32 v28, v25, v31, 1                                // 00000000C8BC: D1FF001C 02063F19
	v_cndmask_b32_e64 v21, v28, v30, s[38:39]                  // 00000000C8C4: D1000015 009A3D1C
	v_perm_b32 v24, v21, v20, s51                              // 00000000C8CC: D1ED0018 00CE2915
	v_cmp_u_f32_e64 s[38:39], v26, v26                         // 00000000C8D4: D0480026 0002351A
	v_add3_u32 v28, v26, v31, 1                                // 00000000C8DC: D1FF001C 02063F1A
	v_cndmask_b32_e64 v20, v28, v30, s[38:39]                  // 00000000C8E4: D1000014 009A3D1C
	v_cmp_u_f32_e64 s[38:39], v27, v27                         // 00000000C8EC: D0480026 0002371B
	v_add3_u32 v28, v27, v31, 1                                // 00000000C8F4: D1FF001C 02063F1B
	v_cndmask_b32_e64 v21, v28, v30, s[38:39]                  // 00000000C8FC: D1000015 009A3D1C
	v_perm_b32 v25, v21, v20, s51                              // 00000000C904: D1ED0019 00CE2915
	ds_write_b64 v5, v[24:25]                                  // 00000000C90C: D89A0000 00001805
	v_mov_b32_e32 v24, v189                                    // 00000000C914: 7E3003BD
	v_mov_b32_e32 v25, v193                                    // 00000000C918: 7E3203C1
	v_mov_b32_e32 v26, v197                                    // 00000000C91C: 7E3403C5
	v_mov_b32_e32 v27, v201                                    // 00000000C920: 7E3603C9
	v_cmp_u_f32_e64 s[38:39], v24, v24                         // 00000000C924: D0480026 00023118
	v_add3_u32 v28, v24, v31, 1                                // 00000000C92C: D1FF001C 02063F18
	v_cndmask_b32_e64 v20, v28, v30, s[38:39]                  // 00000000C934: D1000014 009A3D1C
	v_cmp_u_f32_e64 s[38:39], v25, v25                         // 00000000C93C: D0480026 00023319
	v_add3_u32 v28, v25, v31, 1                                // 00000000C944: D1FF001C 02063F19
	v_cndmask_b32_e64 v21, v28, v30, s[38:39]                  // 00000000C94C: D1000015 009A3D1C
	v_perm_b32 v24, v21, v20, s51                              // 00000000C954: D1ED0018 00CE2915
	v_cmp_u_f32_e64 s[38:39], v26, v26                         // 00000000C95C: D0480026 0002351A
	v_add3_u32 v28, v26, v31, 1                                // 00000000C964: D1FF001C 02063F1A
	v_cndmask_b32_e64 v20, v28, v30, s[38:39]                  // 00000000C96C: D1000014 009A3D1C
	v_cmp_u_f32_e64 s[38:39], v27, v27                         // 00000000C974: D0480026 0002371B
	v_add3_u32 v28, v27, v31, 1                                // 00000000C97C: D1FF001C 02063F1B
	v_cndmask_b32_e64 v21, v28, v30, s[38:39]                  // 00000000C984: D1000015 009A3D1C
	v_perm_b32 v25, v21, v20, s51                              // 00000000C98C: D1ED0019 00CE2915
	ds_write_b64 v5, v[24:25] offset:1152                      // 00000000C994: D89A0480 00001805
	v_mov_b32_e32 v24, v190                                    // 00000000C99C: 7E3003BE
	v_mov_b32_e32 v25, v194                                    // 00000000C9A0: 7E3203C2
	v_mov_b32_e32 v26, v198                                    // 00000000C9A4: 7E3403C6
	v_mov_b32_e32 v27, v202                                    // 00000000C9A8: 7E3603CA
	v_cmp_u_f32_e64 s[38:39], v24, v24                         // 00000000C9AC: D0480026 00023118
	v_add3_u32 v28, v24, v31, 1                                // 00000000C9B4: D1FF001C 02063F18
	v_cndmask_b32_e64 v20, v28, v30, s[38:39]                  // 00000000C9BC: D1000014 009A3D1C
	v_cmp_u_f32_e64 s[38:39], v25, v25                         // 00000000C9C4: D0480026 00023319
	v_add3_u32 v28, v25, v31, 1                                // 00000000C9CC: D1FF001C 02063F19
	v_cndmask_b32_e64 v21, v28, v30, s[38:39]                  // 00000000C9D4: D1000015 009A3D1C
	v_perm_b32 v24, v21, v20, s51                              // 00000000C9DC: D1ED0018 00CE2915
	v_cmp_u_f32_e64 s[38:39], v26, v26                         // 00000000C9E4: D0480026 0002351A
	v_add3_u32 v28, v26, v31, 1                                // 00000000C9EC: D1FF001C 02063F1A
	v_cndmask_b32_e64 v20, v28, v30, s[38:39]                  // 00000000C9F4: D1000014 009A3D1C
	v_cmp_u_f32_e64 s[38:39], v27, v27                         // 00000000C9FC: D0480026 0002371B
	v_add3_u32 v28, v27, v31, 1                                // 00000000CA04: D1FF001C 02063F1B
	v_cndmask_b32_e64 v21, v28, v30, s[38:39]                  // 00000000CA0C: D1000015 009A3D1C
	v_perm_b32 v25, v21, v20, s51                              // 00000000CA14: D1ED0019 00CE2915
	ds_write_b64 v5, v[24:25] offset:144                       // 00000000CA1C: D89A0090 00001805
	v_mov_b32_e32 v24, v191                                    // 00000000CA24: 7E3003BF
	v_mov_b32_e32 v25, v195                                    // 00000000CA28: 7E3203C3
	v_mov_b32_e32 v26, v199                                    // 00000000CA2C: 7E3403C7
	v_mov_b32_e32 v27, v203                                    // 00000000CA30: 7E3603CB
	v_cmp_u_f32_e64 s[38:39], v24, v24                         // 00000000CA34: D0480026 00023118
	v_add3_u32 v28, v24, v31, 1                                // 00000000CA3C: D1FF001C 02063F18
	v_cndmask_b32_e64 v20, v28, v30, s[38:39]                  // 00000000CA44: D1000014 009A3D1C
	v_cmp_u_f32_e64 s[38:39], v25, v25                         // 00000000CA4C: D0480026 00023319
	v_add3_u32 v28, v25, v31, 1                                // 00000000CA54: D1FF001C 02063F19
	v_cndmask_b32_e64 v21, v28, v30, s[38:39]                  // 00000000CA5C: D1000015 009A3D1C
	v_perm_b32 v24, v21, v20, s51                              // 00000000CA64: D1ED0018 00CE2915
	v_cmp_u_f32_e64 s[38:39], v26, v26                         // 00000000CA6C: D0480026 0002351A
	v_add3_u32 v28, v26, v31, 1                                // 00000000CA74: D1FF001C 02063F1A
	v_cndmask_b32_e64 v20, v28, v30, s[38:39]                  // 00000000CA7C: D1000014 009A3D1C
	v_cmp_u_f32_e64 s[38:39], v27, v27                         // 00000000CA84: D0480026 0002371B
	v_add3_u32 v28, v27, v31, 1                                // 00000000CA8C: D1FF001C 02063F1B
	v_cndmask_b32_e64 v21, v28, v30, s[38:39]                  // 00000000CA94: D1000015 009A3D1C
	v_perm_b32 v25, v21, v20, s51                              // 00000000CA9C: D1ED0019 00CE2915
	ds_write_b64 v5, v[24:25] offset:1296                      // 00000000CAA4: D89A0510 00001805
	v_mov_b32_e32 v24, v204                                    // 00000000CAAC: 7E3003CC
	v_mov_b32_e32 v25, v208                                    // 00000000CAB0: 7E3203D0
	v_mov_b32_e32 v26, v212                                    // 00000000CAB4: 7E3403D4
	v_mov_b32_e32 v27, v216                                    // 00000000CAB8: 7E3603D8
	v_cmp_u_f32_e64 s[38:39], v24, v24                         // 00000000CABC: D0480026 00023118
	v_add3_u32 v28, v24, v31, 1                                // 00000000CAC4: D1FF001C 02063F18
	v_cndmask_b32_e64 v20, v28, v30, s[38:39]                  // 00000000CACC: D1000014 009A3D1C
	v_cmp_u_f32_e64 s[38:39], v25, v25                         // 00000000CAD4: D0480026 00023319
	v_add3_u32 v28, v25, v31, 1                                // 00000000CADC: D1FF001C 02063F19
	v_cndmask_b32_e64 v21, v28, v30, s[38:39]                  // 00000000CAE4: D1000015 009A3D1C
	v_perm_b32 v24, v21, v20, s51                              // 00000000CAEC: D1ED0018 00CE2915
	v_cmp_u_f32_e64 s[38:39], v26, v26                         // 00000000CAF4: D0480026 0002351A
	v_add3_u32 v28, v26, v31, 1                                // 00000000CAFC: D1FF001C 02063F1A
	v_cndmask_b32_e64 v20, v28, v30, s[38:39]                  // 00000000CB04: D1000014 009A3D1C
	v_cmp_u_f32_e64 s[38:39], v27, v27                         // 00000000CB0C: D0480026 0002371B
	v_add3_u32 v28, v27, v31, 1                                // 00000000CB14: D1FF001C 02063F1B
	v_cndmask_b32_e64 v21, v28, v30, s[38:39]                  // 00000000CB1C: D1000015 009A3D1C
	v_perm_b32 v25, v21, v20, s51                              // 00000000CB24: D1ED0019 00CE2915
	ds_write_b64 v5, v[24:25] offset:2304                      // 00000000CB2C: D89A0900 00001805
	v_mov_b32_e32 v24, v205                                    // 00000000CB34: 7E3003CD
	v_mov_b32_e32 v25, v209                                    // 00000000CB38: 7E3203D1
	v_mov_b32_e32 v26, v213                                    // 00000000CB3C: 7E3403D5
	v_mov_b32_e32 v27, v217                                    // 00000000CB40: 7E3603D9
	v_cmp_u_f32_e64 s[38:39], v24, v24                         // 00000000CB44: D0480026 00023118
	v_add3_u32 v28, v24, v31, 1                                // 00000000CB4C: D1FF001C 02063F18
	v_cndmask_b32_e64 v20, v28, v30, s[38:39]                  // 00000000CB54: D1000014 009A3D1C
	v_cmp_u_f32_e64 s[38:39], v25, v25                         // 00000000CB5C: D0480026 00023319
	v_add3_u32 v28, v25, v31, 1                                // 00000000CB64: D1FF001C 02063F19
	v_cndmask_b32_e64 v21, v28, v30, s[38:39]                  // 00000000CB6C: D1000015 009A3D1C
	v_perm_b32 v24, v21, v20, s51                              // 00000000CB74: D1ED0018 00CE2915
	v_cmp_u_f32_e64 s[38:39], v26, v26                         // 00000000CB7C: D0480026 0002351A
	v_add3_u32 v28, v26, v31, 1                                // 00000000CB84: D1FF001C 02063F1A
	v_cndmask_b32_e64 v20, v28, v30, s[38:39]                  // 00000000CB8C: D1000014 009A3D1C
	v_cmp_u_f32_e64 s[38:39], v27, v27                         // 00000000CB94: D0480026 0002371B
	v_add3_u32 v28, v27, v31, 1                                // 00000000CB9C: D1FF001C 02063F1B
	v_cndmask_b32_e64 v21, v28, v30, s[38:39]                  // 00000000CBA4: D1000015 009A3D1C
	v_perm_b32 v25, v21, v20, s51                              // 00000000CBAC: D1ED0019 00CE2915
	ds_write_b64 v5, v[24:25] offset:3456                      // 00000000CBB4: D89A0D80 00001805
	v_mov_b32_e32 v24, v206                                    // 00000000CBBC: 7E3003CE
	v_mov_b32_e32 v25, v210                                    // 00000000CBC0: 7E3203D2
	v_mov_b32_e32 v26, v214                                    // 00000000CBC4: 7E3403D6
	v_mov_b32_e32 v27, v218                                    // 00000000CBC8: 7E3603DA
	v_cmp_u_f32_e64 s[38:39], v24, v24                         // 00000000CBCC: D0480026 00023118
	v_add3_u32 v28, v24, v31, 1                                // 00000000CBD4: D1FF001C 02063F18
	v_cndmask_b32_e64 v20, v28, v30, s[38:39]                  // 00000000CBDC: D1000014 009A3D1C
	v_cmp_u_f32_e64 s[38:39], v25, v25                         // 00000000CBE4: D0480026 00023319
	v_add3_u32 v28, v25, v31, 1                                // 00000000CBEC: D1FF001C 02063F19
	v_cndmask_b32_e64 v21, v28, v30, s[38:39]                  // 00000000CBF4: D1000015 009A3D1C
	v_perm_b32 v24, v21, v20, s51                              // 00000000CBFC: D1ED0018 00CE2915
	v_cmp_u_f32_e64 s[38:39], v26, v26                         // 00000000CC04: D0480026 0002351A
	v_add3_u32 v28, v26, v31, 1                                // 00000000CC0C: D1FF001C 02063F1A
	v_cndmask_b32_e64 v20, v28, v30, s[38:39]                  // 00000000CC14: D1000014 009A3D1C
	v_cmp_u_f32_e64 s[38:39], v27, v27                         // 00000000CC1C: D0480026 0002371B
	v_add3_u32 v28, v27, v31, 1                                // 00000000CC24: D1FF001C 02063F1B
	v_cndmask_b32_e64 v21, v28, v30, s[38:39]                  // 00000000CC2C: D1000015 009A3D1C
	v_perm_b32 v25, v21, v20, s51                              // 00000000CC34: D1ED0019 00CE2915
	ds_write_b64 v5, v[24:25] offset:2448                      // 00000000CC3C: D89A0990 00001805
	v_mov_b32_e32 v24, v207                                    // 00000000CC44: 7E3003CF
	v_mov_b32_e32 v25, v211                                    // 00000000CC48: 7E3203D3
	v_mov_b32_e32 v26, v215                                    // 00000000CC4C: 7E3403D7
	v_mov_b32_e32 v27, v219                                    // 00000000CC50: 7E3603DB
	v_cmp_u_f32_e64 s[38:39], v24, v24                         // 00000000CC54: D0480026 00023118
	v_add3_u32 v28, v24, v31, 1                                // 00000000CC5C: D1FF001C 02063F18
	v_cndmask_b32_e64 v20, v28, v30, s[38:39]                  // 00000000CC64: D1000014 009A3D1C
	v_cmp_u_f32_e64 s[38:39], v25, v25                         // 00000000CC6C: D0480026 00023319
	v_add3_u32 v28, v25, v31, 1                                // 00000000CC74: D1FF001C 02063F19
	v_cndmask_b32_e64 v21, v28, v30, s[38:39]                  // 00000000CC7C: D1000015 009A3D1C
	v_perm_b32 v24, v21, v20, s51                              // 00000000CC84: D1ED0018 00CE2915
	v_cmp_u_f32_e64 s[38:39], v26, v26                         // 00000000CC8C: D0480026 0002351A
	v_add3_u32 v28, v26, v31, 1                                // 00000000CC94: D1FF001C 02063F1A
	v_cndmask_b32_e64 v20, v28, v30, s[38:39]                  // 00000000CC9C: D1000014 009A3D1C
	v_cmp_u_f32_e64 s[38:39], v27, v27                         // 00000000CCA4: D0480026 0002371B
	v_add3_u32 v28, v27, v31, 1                                // 00000000CCAC: D1FF001C 02063F1B
	v_cndmask_b32_e64 v21, v28, v30, s[38:39]                  // 00000000CCB4: D1000015 009A3D1C
	v_perm_b32 v25, v21, v20, s51                              // 00000000CCBC: D1ED0019 00CE2915
	ds_write_b64 v5, v[24:25] offset:3600                      // 00000000CCC4: D89A0E10 00001805
	s_waitcnt lgkmcnt(4)                                       // 00000000CCCC: BF8CC47F
	ds_read_b64 v[56:57], v4                                   // 00000000CCD0: D8EC0000 38000004
	ds_read_b64 v[60:61], v4 offset:64                         // 00000000CCD8: D8EC0040 3C000004
	ds_read_b64 v[58:59], v4 offset:1152                       // 00000000CCE0: D8EC0480 3A000004
	ds_read_b64 v[62:63], v4 offset:1216                       // 00000000CCE8: D8EC04C0 3E000004
	s_waitcnt lgkmcnt(4)                                       // 00000000CCF0: BF8CC47F
	ds_read_b64 v[64:65], v4 offset:2304                       // 00000000CCF4: D8EC0900 40000004
	ds_read_b64 v[68:69], v4 offset:2368                       // 00000000CCFC: D8EC0940 44000004
	ds_read_b64 v[66:67], v4 offset:3456                       // 00000000CD04: D8EC0D80 42000004
	ds_read_b64 v[70:71], v4 offset:3520                       // 00000000CD0C: D8EC0DC0 46000004
	s_waitcnt lgkmcnt(0)                                       // 00000000CD14: BF8CC07F
	v_mov_b32_e32 v18, v19                                     // 00000000CD18: 7E240313
	buffer_store_dwordx4 v[56:59], v18, s[8:11], 0 offen offset:256// 00000000CD1C: E07C1100 80023812
	buffer_store_dwordx4 v[64:67], v18, s[8:11], 0 offen offset:384// 00000000CD24: E07C1180 80024012
	v_add_u32_e32 v18, 0x2000, v18                             // 00000000CD2C: 682424FF 00002000
	buffer_store_dwordx4 v[60:63], v18, s[8:11], 0 offen offset:256// 00000000CD34: E07C1100 80023C12
	buffer_store_dwordx4 v[68:71], v18, s[8:11], 0 offen offset:384// 00000000CD3C: E07C1180 80024412
	v_add_u32_e32 v18, 0x2000, v18                             // 00000000CD44: 682424FF 00002000
	v_mov_b32_e32 v24, v220                                    // 00000000CD4C: 7E3003DC
	v_mov_b32_e32 v25, v224                                    // 00000000CD50: 7E3203E0
	v_mov_b32_e32 v26, v228                                    // 00000000CD54: 7E3403E4
	v_mov_b32_e32 v27, v232                                    // 00000000CD58: 7E3603E8
	v_cmp_u_f32_e64 s[38:39], v24, v24                         // 00000000CD5C: D0480026 00023118
	v_add3_u32 v28, v24, v31, 1                                // 00000000CD64: D1FF001C 02063F18
	v_cndmask_b32_e64 v20, v28, v30, s[38:39]                  // 00000000CD6C: D1000014 009A3D1C
	v_cmp_u_f32_e64 s[38:39], v25, v25                         // 00000000CD74: D0480026 00023319
	v_add3_u32 v28, v25, v31, 1                                // 00000000CD7C: D1FF001C 02063F19
	v_cndmask_b32_e64 v21, v28, v30, s[38:39]                  // 00000000CD84: D1000015 009A3D1C
	v_perm_b32 v24, v21, v20, s51                              // 00000000CD8C: D1ED0018 00CE2915
	v_cmp_u_f32_e64 s[38:39], v26, v26                         // 00000000CD94: D0480026 0002351A
	v_add3_u32 v28, v26, v31, 1                                // 00000000CD9C: D1FF001C 02063F1A
	v_cndmask_b32_e64 v20, v28, v30, s[38:39]                  // 00000000CDA4: D1000014 009A3D1C
	v_cmp_u_f32_e64 s[38:39], v27, v27                         // 00000000CDAC: D0480026 0002371B
	v_add3_u32 v28, v27, v31, 1                                // 00000000CDB4: D1FF001C 02063F1B
	v_cndmask_b32_e64 v21, v28, v30, s[38:39]                  // 00000000CDBC: D1000015 009A3D1C
	v_perm_b32 v25, v21, v20, s51                              // 00000000CDC4: D1ED0019 00CE2915
	ds_write_b64 v5, v[24:25]                                  // 00000000CDCC: D89A0000 00001805
	v_mov_b32_e32 v24, v221                                    // 00000000CDD4: 7E3003DD
	v_mov_b32_e32 v25, v225                                    // 00000000CDD8: 7E3203E1
	v_mov_b32_e32 v26, v229                                    // 00000000CDDC: 7E3403E5
	v_mov_b32_e32 v27, v233                                    // 00000000CDE0: 7E3603E9
	v_cmp_u_f32_e64 s[38:39], v24, v24                         // 00000000CDE4: D0480026 00023118
	v_add3_u32 v28, v24, v31, 1                                // 00000000CDEC: D1FF001C 02063F18
	v_cndmask_b32_e64 v20, v28, v30, s[38:39]                  // 00000000CDF4: D1000014 009A3D1C
	v_cmp_u_f32_e64 s[38:39], v25, v25                         // 00000000CDFC: D0480026 00023319
	v_add3_u32 v28, v25, v31, 1                                // 00000000CE04: D1FF001C 02063F19
	v_cndmask_b32_e64 v21, v28, v30, s[38:39]                  // 00000000CE0C: D1000015 009A3D1C
	v_perm_b32 v24, v21, v20, s51                              // 00000000CE14: D1ED0018 00CE2915
	v_cmp_u_f32_e64 s[38:39], v26, v26                         // 00000000CE1C: D0480026 0002351A
	v_add3_u32 v28, v26, v31, 1                                // 00000000CE24: D1FF001C 02063F1A
	v_cndmask_b32_e64 v20, v28, v30, s[38:39]                  // 00000000CE2C: D1000014 009A3D1C
	v_cmp_u_f32_e64 s[38:39], v27, v27                         // 00000000CE34: D0480026 0002371B
	v_add3_u32 v28, v27, v31, 1                                // 00000000CE3C: D1FF001C 02063F1B
	v_cndmask_b32_e64 v21, v28, v30, s[38:39]                  // 00000000CE44: D1000015 009A3D1C
	v_perm_b32 v25, v21, v20, s51                              // 00000000CE4C: D1ED0019 00CE2915
	ds_write_b64 v5, v[24:25] offset:1152                      // 00000000CE54: D89A0480 00001805
	v_mov_b32_e32 v24, v222                                    // 00000000CE5C: 7E3003DE
	v_mov_b32_e32 v25, v226                                    // 00000000CE60: 7E3203E2
	v_mov_b32_e32 v26, v230                                    // 00000000CE64: 7E3403E6
	v_mov_b32_e32 v27, v234                                    // 00000000CE68: 7E3603EA
	v_cmp_u_f32_e64 s[38:39], v24, v24                         // 00000000CE6C: D0480026 00023118
	v_add3_u32 v28, v24, v31, 1                                // 00000000CE74: D1FF001C 02063F18
	v_cndmask_b32_e64 v20, v28, v30, s[38:39]                  // 00000000CE7C: D1000014 009A3D1C
	v_cmp_u_f32_e64 s[38:39], v25, v25                         // 00000000CE84: D0480026 00023319
	v_add3_u32 v28, v25, v31, 1                                // 00000000CE8C: D1FF001C 02063F19
	v_cndmask_b32_e64 v21, v28, v30, s[38:39]                  // 00000000CE94: D1000015 009A3D1C
	v_perm_b32 v24, v21, v20, s51                              // 00000000CE9C: D1ED0018 00CE2915
	v_cmp_u_f32_e64 s[38:39], v26, v26                         // 00000000CEA4: D0480026 0002351A
	v_add3_u32 v28, v26, v31, 1                                // 00000000CEAC: D1FF001C 02063F1A
	v_cndmask_b32_e64 v20, v28, v30, s[38:39]                  // 00000000CEB4: D1000014 009A3D1C
	v_cmp_u_f32_e64 s[38:39], v27, v27                         // 00000000CEBC: D0480026 0002371B
	v_add3_u32 v28, v27, v31, 1                                // 00000000CEC4: D1FF001C 02063F1B
	v_cndmask_b32_e64 v21, v28, v30, s[38:39]                  // 00000000CECC: D1000015 009A3D1C
	v_perm_b32 v25, v21, v20, s51                              // 00000000CED4: D1ED0019 00CE2915
	ds_write_b64 v5, v[24:25] offset:144                       // 00000000CEDC: D89A0090 00001805
	v_mov_b32_e32 v24, v223                                    // 00000000CEE4: 7E3003DF
	v_mov_b32_e32 v25, v227                                    // 00000000CEE8: 7E3203E3
	v_mov_b32_e32 v26, v231                                    // 00000000CEEC: 7E3403E7
	v_mov_b32_e32 v27, v235                                    // 00000000CEF0: 7E3603EB
	v_cmp_u_f32_e64 s[38:39], v24, v24                         // 00000000CEF4: D0480026 00023118
	v_add3_u32 v28, v24, v31, 1                                // 00000000CEFC: D1FF001C 02063F18
	v_cndmask_b32_e64 v20, v28, v30, s[38:39]                  // 00000000CF04: D1000014 009A3D1C
	v_cmp_u_f32_e64 s[38:39], v25, v25                         // 00000000CF0C: D0480026 00023319
	v_add3_u32 v28, v25, v31, 1                                // 00000000CF14: D1FF001C 02063F19
	v_cndmask_b32_e64 v21, v28, v30, s[38:39]                  // 00000000CF1C: D1000015 009A3D1C
	v_perm_b32 v24, v21, v20, s51                              // 00000000CF24: D1ED0018 00CE2915
	v_cmp_u_f32_e64 s[38:39], v26, v26                         // 00000000CF2C: D0480026 0002351A
	v_add3_u32 v28, v26, v31, 1                                // 00000000CF34: D1FF001C 02063F1A
	v_cndmask_b32_e64 v20, v28, v30, s[38:39]                  // 00000000CF3C: D1000014 009A3D1C
	v_cmp_u_f32_e64 s[38:39], v27, v27                         // 00000000CF44: D0480026 0002371B
	v_add3_u32 v28, v27, v31, 1                                // 00000000CF4C: D1FF001C 02063F1B
	v_cndmask_b32_e64 v21, v28, v30, s[38:39]                  // 00000000CF54: D1000015 009A3D1C
	v_perm_b32 v25, v21, v20, s51                              // 00000000CF5C: D1ED0019 00CE2915
	ds_write_b64 v5, v[24:25] offset:1296                      // 00000000CF64: D89A0510 00001805
	v_mov_b32_e32 v24, v236                                    // 00000000CF6C: 7E3003EC
	v_mov_b32_e32 v25, v240                                    // 00000000CF70: 7E3203F0
	v_mov_b32_e32 v26, v244                                    // 00000000CF74: 7E3403F4
	v_mov_b32_e32 v27, v248                                    // 00000000CF78: 7E3603F8
	v_cmp_u_f32_e64 s[38:39], v24, v24                         // 00000000CF7C: D0480026 00023118
	v_add3_u32 v28, v24, v31, 1                                // 00000000CF84: D1FF001C 02063F18
	v_cndmask_b32_e64 v20, v28, v30, s[38:39]                  // 00000000CF8C: D1000014 009A3D1C
	v_cmp_u_f32_e64 s[38:39], v25, v25                         // 00000000CF94: D0480026 00023319
	v_add3_u32 v28, v25, v31, 1                                // 00000000CF9C: D1FF001C 02063F19
	v_cndmask_b32_e64 v21, v28, v30, s[38:39]                  // 00000000CFA4: D1000015 009A3D1C
	v_perm_b32 v24, v21, v20, s51                              // 00000000CFAC: D1ED0018 00CE2915
	v_cmp_u_f32_e64 s[38:39], v26, v26                         // 00000000CFB4: D0480026 0002351A
	v_add3_u32 v28, v26, v31, 1                                // 00000000CFBC: D1FF001C 02063F1A
	v_cndmask_b32_e64 v20, v28, v30, s[38:39]                  // 00000000CFC4: D1000014 009A3D1C
	v_cmp_u_f32_e64 s[38:39], v27, v27                         // 00000000CFCC: D0480026 0002371B
	v_add3_u32 v28, v27, v31, 1                                // 00000000CFD4: D1FF001C 02063F1B
	v_cndmask_b32_e64 v21, v28, v30, s[38:39]                  // 00000000CFDC: D1000015 009A3D1C
	v_perm_b32 v25, v21, v20, s51                              // 00000000CFE4: D1ED0019 00CE2915
	ds_write_b64 v5, v[24:25] offset:2304                      // 00000000CFEC: D89A0900 00001805
	v_mov_b32_e32 v24, v237                                    // 00000000CFF4: 7E3003ED
	v_mov_b32_e32 v25, v241                                    // 00000000CFF8: 7E3203F1
	v_mov_b32_e32 v26, v245                                    // 00000000CFFC: 7E3403F5
	v_mov_b32_e32 v27, v249                                    // 00000000D000: 7E3603F9
	v_cmp_u_f32_e64 s[38:39], v24, v24                         // 00000000D004: D0480026 00023118
	v_add3_u32 v28, v24, v31, 1                                // 00000000D00C: D1FF001C 02063F18
	v_cndmask_b32_e64 v20, v28, v30, s[38:39]                  // 00000000D014: D1000014 009A3D1C
	v_cmp_u_f32_e64 s[38:39], v25, v25                         // 00000000D01C: D0480026 00023319
	v_add3_u32 v28, v25, v31, 1                                // 00000000D024: D1FF001C 02063F19
	v_cndmask_b32_e64 v21, v28, v30, s[38:39]                  // 00000000D02C: D1000015 009A3D1C
	v_perm_b32 v24, v21, v20, s51                              // 00000000D034: D1ED0018 00CE2915
	v_cmp_u_f32_e64 s[38:39], v26, v26                         // 00000000D03C: D0480026 0002351A
	v_add3_u32 v28, v26, v31, 1                                // 00000000D044: D1FF001C 02063F1A
	v_cndmask_b32_e64 v20, v28, v30, s[38:39]                  // 00000000D04C: D1000014 009A3D1C
	v_cmp_u_f32_e64 s[38:39], v27, v27                         // 00000000D054: D0480026 0002371B
	v_add3_u32 v28, v27, v31, 1                                // 00000000D05C: D1FF001C 02063F1B
	v_cndmask_b32_e64 v21, v28, v30, s[38:39]                  // 00000000D064: D1000015 009A3D1C
	v_perm_b32 v25, v21, v20, s51                              // 00000000D06C: D1ED0019 00CE2915
	ds_write_b64 v5, v[24:25] offset:3456                      // 00000000D074: D89A0D80 00001805
	v_mov_b32_e32 v24, v238                                    // 00000000D07C: 7E3003EE
	v_mov_b32_e32 v25, v242                                    // 00000000D080: 7E3203F2
	v_mov_b32_e32 v26, v246                                    // 00000000D084: 7E3403F6
	v_mov_b32_e32 v27, v250                                    // 00000000D088: 7E3603FA
	v_cmp_u_f32_e64 s[38:39], v24, v24                         // 00000000D08C: D0480026 00023118
	v_add3_u32 v28, v24, v31, 1                                // 00000000D094: D1FF001C 02063F18
	v_cndmask_b32_e64 v20, v28, v30, s[38:39]                  // 00000000D09C: D1000014 009A3D1C
	v_cmp_u_f32_e64 s[38:39], v25, v25                         // 00000000D0A4: D0480026 00023319
	v_add3_u32 v28, v25, v31, 1                                // 00000000D0AC: D1FF001C 02063F19
	v_cndmask_b32_e64 v21, v28, v30, s[38:39]                  // 00000000D0B4: D1000015 009A3D1C
	v_perm_b32 v24, v21, v20, s51                              // 00000000D0BC: D1ED0018 00CE2915
	v_cmp_u_f32_e64 s[38:39], v26, v26                         // 00000000D0C4: D0480026 0002351A
	v_add3_u32 v28, v26, v31, 1                                // 00000000D0CC: D1FF001C 02063F1A
	v_cndmask_b32_e64 v20, v28, v30, s[38:39]                  // 00000000D0D4: D1000014 009A3D1C
	v_cmp_u_f32_e64 s[38:39], v27, v27                         // 00000000D0DC: D0480026 0002371B
	v_add3_u32 v28, v27, v31, 1                                // 00000000D0E4: D1FF001C 02063F1B
	v_cndmask_b32_e64 v21, v28, v30, s[38:39]                  // 00000000D0EC: D1000015 009A3D1C
	v_perm_b32 v25, v21, v20, s51                              // 00000000D0F4: D1ED0019 00CE2915
	ds_write_b64 v5, v[24:25] offset:2448                      // 00000000D0FC: D89A0990 00001805
	v_mov_b32_e32 v24, v239                                    // 00000000D104: 7E3003EF
	v_mov_b32_e32 v25, v243                                    // 00000000D108: 7E3203F3
	v_mov_b32_e32 v26, v247                                    // 00000000D10C: 7E3403F7
	v_mov_b32_e32 v27, v251                                    // 00000000D110: 7E3603FB
	v_cmp_u_f32_e64 s[38:39], v24, v24                         // 00000000D114: D0480026 00023118
	v_add3_u32 v28, v24, v31, 1                                // 00000000D11C: D1FF001C 02063F18
	v_cndmask_b32_e64 v20, v28, v30, s[38:39]                  // 00000000D124: D1000014 009A3D1C
	v_cmp_u_f32_e64 s[38:39], v25, v25                         // 00000000D12C: D0480026 00023319
	v_add3_u32 v28, v25, v31, 1                                // 00000000D134: D1FF001C 02063F19
	v_cndmask_b32_e64 v21, v28, v30, s[38:39]                  // 00000000D13C: D1000015 009A3D1C
	v_perm_b32 v24, v21, v20, s51                              // 00000000D144: D1ED0018 00CE2915
	v_cmp_u_f32_e64 s[38:39], v26, v26                         // 00000000D14C: D0480026 0002351A
	v_add3_u32 v28, v26, v31, 1                                // 00000000D154: D1FF001C 02063F1A
	v_cndmask_b32_e64 v20, v28, v30, s[38:39]                  // 00000000D15C: D1000014 009A3D1C
	v_cmp_u_f32_e64 s[38:39], v27, v27                         // 00000000D164: D0480026 0002371B
	v_add3_u32 v28, v27, v31, 1                                // 00000000D16C: D1FF001C 02063F1B
	v_cndmask_b32_e64 v21, v28, v30, s[38:39]                  // 00000000D174: D1000015 009A3D1C
	v_perm_b32 v25, v21, v20, s51                              // 00000000D17C: D1ED0019 00CE2915
	ds_write_b64 v5, v[24:25] offset:3600                      // 00000000D184: D89A0E10 00001805
	s_waitcnt lgkmcnt(4)                                       // 00000000D18C: BF8CC47F
	ds_read_b64 v[56:57], v4                                   // 00000000D190: D8EC0000 38000004
	ds_read_b64 v[60:61], v4 offset:64                         // 00000000D198: D8EC0040 3C000004
	ds_read_b64 v[58:59], v4 offset:1152                       // 00000000D1A0: D8EC0480 3A000004
	ds_read_b64 v[62:63], v4 offset:1216                       // 00000000D1A8: D8EC04C0 3E000004
	s_waitcnt lgkmcnt(4)                                       // 00000000D1B0: BF8CC47F
	ds_read_b64 v[64:65], v4 offset:2304                       // 00000000D1B4: D8EC0900 40000004
	ds_read_b64 v[68:69], v4 offset:2368                       // 00000000D1BC: D8EC0940 44000004
	ds_read_b64 v[66:67], v4 offset:3456                       // 00000000D1C4: D8EC0D80 42000004
	ds_read_b64 v[70:71], v4 offset:3520                       // 00000000D1CC: D8EC0DC0 46000004
	s_waitcnt lgkmcnt(0)                                       // 00000000D1D4: BF8CC07F
	v_mov_b32_e32 v18, v19                                     // 00000000D1D8: 7E240313
	buffer_store_dwordx4 v[56:59], v18, s[8:11], 0 offen offset:512// 00000000D1DC: E07C1200 80023812
	buffer_store_dwordx4 v[64:67], v18, s[8:11], 0 offen offset:640// 00000000D1E4: E07C1280 80024012
	v_add_u32_e32 v18, 0x2000, v18                             // 00000000D1EC: 682424FF 00002000
	buffer_store_dwordx4 v[60:63], v18, s[8:11], 0 offen offset:512// 00000000D1F4: E07C1200 80023C12
	buffer_store_dwordx4 v[68:71], v18, s[8:11], 0 offen offset:640// 00000000D1FC: E07C1280 80024412
	v_add_u32_e32 v18, 0x2000, v18                             // 00000000D204: 682424FF 00002000
	v_mov_b32_e32 v24, v252                                    // 00000000D20C: 7E3003FC
	v_accvgpr_read_b32 v25, a172                               // 00000000D210: D3D84019 180001AC
	v_accvgpr_read_b32 v26, a176                               // 00000000D218: D3D8401A 180001B0
	v_accvgpr_read_b32 v27, a180                               // 00000000D220: D3D8401B 180001B4
	v_cmp_u_f32_e64 s[38:39], v24, v24                         // 00000000D228: D0480026 00023118
	v_add3_u32 v28, v24, v31, 1                                // 00000000D230: D1FF001C 02063F18
	v_cndmask_b32_e64 v20, v28, v30, s[38:39]                  // 00000000D238: D1000014 009A3D1C
	v_cmp_u_f32_e64 s[38:39], v25, v25                         // 00000000D240: D0480026 00023319
	v_add3_u32 v28, v25, v31, 1                                // 00000000D248: D1FF001C 02063F19
	v_cndmask_b32_e64 v21, v28, v30, s[38:39]                  // 00000000D250: D1000015 009A3D1C
	v_perm_b32 v24, v21, v20, s51                              // 00000000D258: D1ED0018 00CE2915
	v_cmp_u_f32_e64 s[38:39], v26, v26                         // 00000000D260: D0480026 0002351A
	v_add3_u32 v28, v26, v31, 1                                // 00000000D268: D1FF001C 02063F1A
	v_cndmask_b32_e64 v20, v28, v30, s[38:39]                  // 00000000D270: D1000014 009A3D1C
	v_cmp_u_f32_e64 s[38:39], v27, v27                         // 00000000D278: D0480026 0002371B
	v_add3_u32 v28, v27, v31, 1                                // 00000000D280: D1FF001C 02063F1B
	v_cndmask_b32_e64 v21, v28, v30, s[38:39]                  // 00000000D288: D1000015 009A3D1C
	v_perm_b32 v25, v21, v20, s51                              // 00000000D290: D1ED0019 00CE2915
	ds_write_b64 v5, v[24:25]                                  // 00000000D298: D89A0000 00001805
	v_mov_b32_e32 v24, v253                                    // 00000000D2A0: 7E3003FD
	v_accvgpr_read_b32 v25, a173                               // 00000000D2A4: D3D84019 180001AD
	v_accvgpr_read_b32 v26, a177                               // 00000000D2AC: D3D8401A 180001B1
	v_accvgpr_read_b32 v27, a181                               // 00000000D2B4: D3D8401B 180001B5
	v_cmp_u_f32_e64 s[38:39], v24, v24                         // 00000000D2BC: D0480026 00023118
	v_add3_u32 v28, v24, v31, 1                                // 00000000D2C4: D1FF001C 02063F18
	v_cndmask_b32_e64 v20, v28, v30, s[38:39]                  // 00000000D2CC: D1000014 009A3D1C
	v_cmp_u_f32_e64 s[38:39], v25, v25                         // 00000000D2D4: D0480026 00023319
	v_add3_u32 v28, v25, v31, 1                                // 00000000D2DC: D1FF001C 02063F19
	v_cndmask_b32_e64 v21, v28, v30, s[38:39]                  // 00000000D2E4: D1000015 009A3D1C
	v_perm_b32 v24, v21, v20, s51                              // 00000000D2EC: D1ED0018 00CE2915
	v_cmp_u_f32_e64 s[38:39], v26, v26                         // 00000000D2F4: D0480026 0002351A
	v_add3_u32 v28, v26, v31, 1                                // 00000000D2FC: D1FF001C 02063F1A
	v_cndmask_b32_e64 v20, v28, v30, s[38:39]                  // 00000000D304: D1000014 009A3D1C
	v_cmp_u_f32_e64 s[38:39], v27, v27                         // 00000000D30C: D0480026 0002371B
	v_add3_u32 v28, v27, v31, 1                                // 00000000D314: D1FF001C 02063F1B
	v_cndmask_b32_e64 v21, v28, v30, s[38:39]                  // 00000000D31C: D1000015 009A3D1C
	v_perm_b32 v25, v21, v20, s51                              // 00000000D324: D1ED0019 00CE2915
	ds_write_b64 v5, v[24:25] offset:1152                      // 00000000D32C: D89A0480 00001805
	v_mov_b32_e32 v24, v254                                    // 00000000D334: 7E3003FE
	v_accvgpr_read_b32 v25, a174                               // 00000000D338: D3D84019 180001AE
	v_accvgpr_read_b32 v26, a178                               // 00000000D340: D3D8401A 180001B2
	v_accvgpr_read_b32 v27, a182                               // 00000000D348: D3D8401B 180001B6
	v_cmp_u_f32_e64 s[38:39], v24, v24                         // 00000000D350: D0480026 00023118
	v_add3_u32 v28, v24, v31, 1                                // 00000000D358: D1FF001C 02063F18
	v_cndmask_b32_e64 v20, v28, v30, s[38:39]                  // 00000000D360: D1000014 009A3D1C
	v_cmp_u_f32_e64 s[38:39], v25, v25                         // 00000000D368: D0480026 00023319
	v_add3_u32 v28, v25, v31, 1                                // 00000000D370: D1FF001C 02063F19
	v_cndmask_b32_e64 v21, v28, v30, s[38:39]                  // 00000000D378: D1000015 009A3D1C
	v_perm_b32 v24, v21, v20, s51                              // 00000000D380: D1ED0018 00CE2915
	v_cmp_u_f32_e64 s[38:39], v26, v26                         // 00000000D388: D0480026 0002351A
	v_add3_u32 v28, v26, v31, 1                                // 00000000D390: D1FF001C 02063F1A
	v_cndmask_b32_e64 v20, v28, v30, s[38:39]                  // 00000000D398: D1000014 009A3D1C
	v_cmp_u_f32_e64 s[38:39], v27, v27                         // 00000000D3A0: D0480026 0002371B
	v_add3_u32 v28, v27, v31, 1                                // 00000000D3A8: D1FF001C 02063F1B
	v_cndmask_b32_e64 v21, v28, v30, s[38:39]                  // 00000000D3B0: D1000015 009A3D1C
	v_perm_b32 v25, v21, v20, s51                              // 00000000D3B8: D1ED0019 00CE2915
	ds_write_b64 v5, v[24:25] offset:144                       // 00000000D3C0: D89A0090 00001805
	v_mov_b32_e32 v24, v255                                    // 00000000D3C8: 7E3003FF
	v_accvgpr_read_b32 v25, a175                               // 00000000D3CC: D3D84019 180001AF
	v_accvgpr_read_b32 v26, a179                               // 00000000D3D4: D3D8401A 180001B3
	v_accvgpr_read_b32 v27, a183                               // 00000000D3DC: D3D8401B 180001B7
	v_cmp_u_f32_e64 s[38:39], v24, v24                         // 00000000D3E4: D0480026 00023118
	v_add3_u32 v28, v24, v31, 1                                // 00000000D3EC: D1FF001C 02063F18
	v_cndmask_b32_e64 v20, v28, v30, s[38:39]                  // 00000000D3F4: D1000014 009A3D1C
	v_cmp_u_f32_e64 s[38:39], v25, v25                         // 00000000D3FC: D0480026 00023319
	v_add3_u32 v28, v25, v31, 1                                // 00000000D404: D1FF001C 02063F19
	v_cndmask_b32_e64 v21, v28, v30, s[38:39]                  // 00000000D40C: D1000015 009A3D1C
	v_perm_b32 v24, v21, v20, s51                              // 00000000D414: D1ED0018 00CE2915
	v_cmp_u_f32_e64 s[38:39], v26, v26                         // 00000000D41C: D0480026 0002351A
	v_add3_u32 v28, v26, v31, 1                                // 00000000D424: D1FF001C 02063F1A
	v_cndmask_b32_e64 v20, v28, v30, s[38:39]                  // 00000000D42C: D1000014 009A3D1C
	v_cmp_u_f32_e64 s[38:39], v27, v27                         // 00000000D434: D0480026 0002371B
	v_add3_u32 v28, v27, v31, 1                                // 00000000D43C: D1FF001C 02063F1B
	v_cndmask_b32_e64 v21, v28, v30, s[38:39]                  // 00000000D444: D1000015 009A3D1C
	v_perm_b32 v25, v21, v20, s51                              // 00000000D44C: D1ED0019 00CE2915
	ds_write_b64 v5, v[24:25] offset:1296                      // 00000000D454: D89A0510 00001805
	v_accvgpr_read_b32 v24, a184                               // 00000000D45C: D3D84018 180001B8
	v_accvgpr_read_b32 v25, a188                               // 00000000D464: D3D84019 180001BC
	v_accvgpr_read_b32 v26, a192                               // 00000000D46C: D3D8401A 180001C0
	v_accvgpr_read_b32 v27, a196                               // 00000000D474: D3D8401B 180001C4
	v_cmp_u_f32_e64 s[38:39], v24, v24                         // 00000000D47C: D0480026 00023118
	v_add3_u32 v28, v24, v31, 1                                // 00000000D484: D1FF001C 02063F18
	v_cndmask_b32_e64 v20, v28, v30, s[38:39]                  // 00000000D48C: D1000014 009A3D1C
	v_cmp_u_f32_e64 s[38:39], v25, v25                         // 00000000D494: D0480026 00023319
	v_add3_u32 v28, v25, v31, 1                                // 00000000D49C: D1FF001C 02063F19
	v_cndmask_b32_e64 v21, v28, v30, s[38:39]                  // 00000000D4A4: D1000015 009A3D1C
	v_perm_b32 v24, v21, v20, s51                              // 00000000D4AC: D1ED0018 00CE2915
	v_cmp_u_f32_e64 s[38:39], v26, v26                         // 00000000D4B4: D0480026 0002351A
	v_add3_u32 v28, v26, v31, 1                                // 00000000D4BC: D1FF001C 02063F1A
	v_cndmask_b32_e64 v20, v28, v30, s[38:39]                  // 00000000D4C4: D1000014 009A3D1C
	v_cmp_u_f32_e64 s[38:39], v27, v27                         // 00000000D4CC: D0480026 0002371B
	v_add3_u32 v28, v27, v31, 1                                // 00000000D4D4: D1FF001C 02063F1B
	v_cndmask_b32_e64 v21, v28, v30, s[38:39]                  // 00000000D4DC: D1000015 009A3D1C
	v_perm_b32 v25, v21, v20, s51                              // 00000000D4E4: D1ED0019 00CE2915
	ds_write_b64 v5, v[24:25] offset:2304                      // 00000000D4EC: D89A0900 00001805
	v_accvgpr_read_b32 v24, a185                               // 00000000D4F4: D3D84018 180001B9
	v_accvgpr_read_b32 v25, a189                               // 00000000D4FC: D3D84019 180001BD
	v_accvgpr_read_b32 v26, a193                               // 00000000D504: D3D8401A 180001C1
	v_accvgpr_read_b32 v27, a197                               // 00000000D50C: D3D8401B 180001C5
	v_cmp_u_f32_e64 s[38:39], v24, v24                         // 00000000D514: D0480026 00023118
	v_add3_u32 v28, v24, v31, 1                                // 00000000D51C: D1FF001C 02063F18
	v_cndmask_b32_e64 v20, v28, v30, s[38:39]                  // 00000000D524: D1000014 009A3D1C
	v_cmp_u_f32_e64 s[38:39], v25, v25                         // 00000000D52C: D0480026 00023319
	v_add3_u32 v28, v25, v31, 1                                // 00000000D534: D1FF001C 02063F19
	v_cndmask_b32_e64 v21, v28, v30, s[38:39]                  // 00000000D53C: D1000015 009A3D1C
	v_perm_b32 v24, v21, v20, s51                              // 00000000D544: D1ED0018 00CE2915
	v_cmp_u_f32_e64 s[38:39], v26, v26                         // 00000000D54C: D0480026 0002351A
	v_add3_u32 v28, v26, v31, 1                                // 00000000D554: D1FF001C 02063F1A
	v_cndmask_b32_e64 v20, v28, v30, s[38:39]                  // 00000000D55C: D1000014 009A3D1C
	v_cmp_u_f32_e64 s[38:39], v27, v27                         // 00000000D564: D0480026 0002371B
	v_add3_u32 v28, v27, v31, 1                                // 00000000D56C: D1FF001C 02063F1B
	v_cndmask_b32_e64 v21, v28, v30, s[38:39]                  // 00000000D574: D1000015 009A3D1C
	v_perm_b32 v25, v21, v20, s51                              // 00000000D57C: D1ED0019 00CE2915
	ds_write_b64 v5, v[24:25] offset:3456                      // 00000000D584: D89A0D80 00001805
	v_accvgpr_read_b32 v24, a186                               // 00000000D58C: D3D84018 180001BA
	v_accvgpr_read_b32 v25, a190                               // 00000000D594: D3D84019 180001BE
	v_accvgpr_read_b32 v26, a194                               // 00000000D59C: D3D8401A 180001C2
	v_accvgpr_read_b32 v27, a198                               // 00000000D5A4: D3D8401B 180001C6
	v_cmp_u_f32_e64 s[38:39], v24, v24                         // 00000000D5AC: D0480026 00023118
	v_add3_u32 v28, v24, v31, 1                                // 00000000D5B4: D1FF001C 02063F18
	v_cndmask_b32_e64 v20, v28, v30, s[38:39]                  // 00000000D5BC: D1000014 009A3D1C
	v_cmp_u_f32_e64 s[38:39], v25, v25                         // 00000000D5C4: D0480026 00023319
	v_add3_u32 v28, v25, v31, 1                                // 00000000D5CC: D1FF001C 02063F19
	v_cndmask_b32_e64 v21, v28, v30, s[38:39]                  // 00000000D5D4: D1000015 009A3D1C
	v_perm_b32 v24, v21, v20, s51                              // 00000000D5DC: D1ED0018 00CE2915
	v_cmp_u_f32_e64 s[38:39], v26, v26                         // 00000000D5E4: D0480026 0002351A
	v_add3_u32 v28, v26, v31, 1                                // 00000000D5EC: D1FF001C 02063F1A
	v_cndmask_b32_e64 v20, v28, v30, s[38:39]                  // 00000000D5F4: D1000014 009A3D1C
	v_cmp_u_f32_e64 s[38:39], v27, v27                         // 00000000D5FC: D0480026 0002371B
	v_add3_u32 v28, v27, v31, 1                                // 00000000D604: D1FF001C 02063F1B
	v_cndmask_b32_e64 v21, v28, v30, s[38:39]                  // 00000000D60C: D1000015 009A3D1C
	v_perm_b32 v25, v21, v20, s51                              // 00000000D614: D1ED0019 00CE2915
	ds_write_b64 v5, v[24:25] offset:2448                      // 00000000D61C: D89A0990 00001805
	v_accvgpr_read_b32 v24, a187                               // 00000000D624: D3D84018 180001BB
	v_accvgpr_read_b32 v25, a191                               // 00000000D62C: D3D84019 180001BF
	v_accvgpr_read_b32 v26, a195                               // 00000000D634: D3D8401A 180001C3
	v_accvgpr_read_b32 v27, a199                               // 00000000D63C: D3D8401B 180001C7
	v_cmp_u_f32_e64 s[38:39], v24, v24                         // 00000000D644: D0480026 00023118
	v_add3_u32 v28, v24, v31, 1                                // 00000000D64C: D1FF001C 02063F18
	v_cndmask_b32_e64 v20, v28, v30, s[38:39]                  // 00000000D654: D1000014 009A3D1C
	v_cmp_u_f32_e64 s[38:39], v25, v25                         // 00000000D65C: D0480026 00023319
	v_add3_u32 v28, v25, v31, 1                                // 00000000D664: D1FF001C 02063F19
	v_cndmask_b32_e64 v21, v28, v30, s[38:39]                  // 00000000D66C: D1000015 009A3D1C
	v_perm_b32 v24, v21, v20, s51                              // 00000000D674: D1ED0018 00CE2915
	v_cmp_u_f32_e64 s[38:39], v26, v26                         // 00000000D67C: D0480026 0002351A
	v_add3_u32 v28, v26, v31, 1                                // 00000000D684: D1FF001C 02063F1A
	v_cndmask_b32_e64 v20, v28, v30, s[38:39]                  // 00000000D68C: D1000014 009A3D1C
	v_cmp_u_f32_e64 s[38:39], v27, v27                         // 00000000D694: D0480026 0002371B
	v_add3_u32 v28, v27, v31, 1                                // 00000000D69C: D1FF001C 02063F1B
	v_cndmask_b32_e64 v21, v28, v30, s[38:39]                  // 00000000D6A4: D1000015 009A3D1C
	v_perm_b32 v25, v21, v20, s51                              // 00000000D6AC: D1ED0019 00CE2915
	ds_write_b64 v5, v[24:25] offset:3600                      // 00000000D6B4: D89A0E10 00001805
	s_waitcnt lgkmcnt(4)                                       // 00000000D6BC: BF8CC47F
	ds_read_b64 v[56:57], v4                                   // 00000000D6C0: D8EC0000 38000004
	ds_read_b64 v[60:61], v4 offset:64                         // 00000000D6C8: D8EC0040 3C000004
	ds_read_b64 v[58:59], v4 offset:1152                       // 00000000D6D0: D8EC0480 3A000004
	ds_read_b64 v[62:63], v4 offset:1216                       // 00000000D6D8: D8EC04C0 3E000004
	s_waitcnt lgkmcnt(4)                                       // 00000000D6E0: BF8CC47F
	ds_read_b64 v[64:65], v4 offset:2304                       // 00000000D6E4: D8EC0900 40000004
	ds_read_b64 v[68:69], v4 offset:2368                       // 00000000D6EC: D8EC0940 44000004
	ds_read_b64 v[66:67], v4 offset:3456                       // 00000000D6F4: D8EC0D80 42000004
	ds_read_b64 v[70:71], v4 offset:3520                       // 00000000D6FC: D8EC0DC0 46000004
	s_waitcnt lgkmcnt(0)                                       // 00000000D704: BF8CC07F
	v_mov_b32_e32 v18, v19                                     // 00000000D708: 7E240313
	buffer_store_dwordx4 v[56:59], v18, s[8:11], 0 offen offset:768// 00000000D70C: E07C1300 80023812
	buffer_store_dwordx4 v[64:67], v18, s[8:11], 0 offen offset:896// 00000000D714: E07C1380 80024012
	v_add_u32_e32 v18, 0x2000, v18                             // 00000000D71C: 682424FF 00002000
	buffer_store_dwordx4 v[60:63], v18, s[8:11], 0 offen offset:768// 00000000D724: E07C1300 80023C12
	buffer_store_dwordx4 v[68:71], v18, s[8:11], 0 offen offset:896// 00000000D72C: E07C1380 80024412
	v_add_u32_e32 v18, 0x2000, v18                             // 00000000D734: 682424FF 00002000
	s_branch label_307F                                        // 00000000D73C: BF82036F

000000000000d740 <label_2D10>:
	s_mul_i32 s76, s67, s75                                    // 00000000D740: 924C4B43
	s_add_u32 s56, s80, s79                                    // 00000000D744: 80384F50
	v_mov_b32_e32 v20, s56                                     // 00000000D748: 7E280238
	v_mul_lo_u32 v21, s76, v20                                 // 00000000D74C: D2850015 0002284C
	v_mul_hi_u32 v22, s76, v20                                 // 00000000D754: D2860016 0002284C
	s_nop 2                                                    // 00000000D75C: BF800002
	v_readfirstlane_b32 s56, v21                               // 00000000D760: 7E700515
	v_readfirstlane_b32 s57, v22                               // 00000000D764: 7E720516
	s_nop 4                                                    // 00000000D768: BF800004
	s_add_u32 s8, s56, s8                                      // 00000000D76C: 80080838
	s_addc_u32 s9, s57, s9                                     // 00000000D770: 82090939
	s_sub_u32 s56, s81, s80                                    // 00000000D774: 80B85051
	s_mul_i32 s56, s56, s76                                    // 00000000D778: 92384C38
	s_mov_b32 s10, s56                                         // 00000000D77C: BE8A0038
	v_and_b32_e32 v20, 15, v0                                  // 00000000D780: 2628008F
	v_lshlrev_b32_e32 v18, 4, v20                              // 00000000D784: 24242884
	v_lshrrev_b32_e32 v20, 4, v0                               // 00000000D788: 20280084
	v_mul_i32_i24_e32 v20, 0x800, v20                          // 00000000D78C: 0C2828FF 00000800
	v_add_u32_e32 v18, v18, v20                                // 00000000D794: 68242912
	s_mul_i32 s56, s4, s75                                     // 00000000D798: 92384B04
	v_add_u32_e64 v18, v18, s56                                // 00000000D79C: D1340012 00007112
	s_mul_i32 s56, s7, 0x8000                                  // 00000000D7A4: 9238FF07 00008000
	v_add_u32_e64 v18, v18, s56                                // 00000000D7AC: D1340012 00007112
	v_mov_b32_e32 v19, v18                                     // 00000000D7B4: 7E260312
	s_mul_i32 s57, 4, s65                                      // 00000000D7B8: 92394184
	s_mul_i32 s77, s67, s57                                    // 00000000D7BC: 924D3943
	s_add_u32 s56, s80, s79                                    // 00000000D7C0: 80384F50
	s_mul_i32 s56, s56, s77                                    // 00000000D7C4: 92384D38
	s_add_u32 s12, s56, s12                                    // 00000000D7C8: 800C0C38
	s_addc_u32 s13, 0, s13                                     // 00000000D7CC: 820D0D80
	s_sub_u32 s56, s81, s80                                    // 00000000D7D0: 80B85051
	s_mul_i32 s56, s56, s77                                    // 00000000D7D4: 92384D38
	s_mov_b32 s14, s56                                         // 00000000D7D8: BE8E0038
	v_and_b32_e32 v26, 15, v0                                  // 00000000D7DC: 2634008F
	v_lshlrev_b32_e32 v26, 2, v26                              // 00000000D7E0: 24343482
	s_mul_i32 s56, s4, s57                                     // 00000000D7E4: 92383904
	v_add_u32_e64 v26, v26, s56                                // 00000000D7E8: D134001A 0000711A
	s_mul_i32 s56, s7, 64                                      // 00000000D7F0: 9238C007
	v_add_u32_e64 v26, v26, s56                                // 00000000D7F4: D134001A 0000711A
	s_waitcnt vmcnt(0) lgkmcnt(0)                              // 00000000D7FC: BF8C0070
	s_barrier                                                  // 00000000D800: BF8A0000
	v_lshlrev_b32_e32 v5, 2, v0                                // 00000000D804: 240A0082
	s_mul_i32 s56, s7, 0x840                                   // 00000000D808: 9238FF07 00000840
	v_add_u32_e32 v5, s56, v5                                  // 00000000D810: 680A0A38
	v_lshlrev_b32_e32 v5, 2, v5                                // 00000000D814: 240A0A82
	v_lshrrev_b32_e32 v20, 4, v0                               // 00000000D818: 20280084
	v_mul_i32_i24_e32 v4, 4, v20                               // 00000000D81C: 0C082884
	v_and_b32_e32 v20, 3, v0                                   // 00000000D820: 26280083
	v_mul_i32_i24_e32 v20, 0x108, v20                          // 00000000D824: 0C2828FF 00000108
	v_add_u32_e32 v4, v20, v4                                  // 00000000D82C: 68080914
	v_and_b32_e32 v20, 15, v0                                  // 00000000D830: 2628008F
	v_lshrrev_b32_e32 v20, 2, v20                              // 00000000D834: 20282882
	v_mul_i32_i24_e32 v20, 64, v20                             // 00000000D838: 0C2828C0
	v_add_u32_e32 v4, v20, v4                                  // 00000000D83C: 68080914
	s_mul_i32 s56, s7, 0x840                                   // 00000000D840: 9238FF07 00000840
	v_add_u32_e32 v4, s56, v4                                  // 00000000D848: 68080838
	v_lshlrev_b32_e32 v4, 2, v4                                // 00000000D84C: 24080882
	s_mov_b32 s56, 0                                           // 00000000D850: BEB80080
	v_add_u32_e64 v19, v19, s56                                // 00000000D854: D1340013 00007113
	v_mov_b32_e32 v20, v56                                     // 00000000D85C: 7E280338
	v_mov_b32_e32 v21, v60                                     // 00000000D860: 7E2A033C
	v_mov_b32_e32 v22, v64                                     // 00000000D864: 7E2C0340
	v_mov_b32_e32 v23, v68                                     // 00000000D868: 7E2E0344
	ds_write_b128 v5, v[20:23]                                 // 00000000D86C: D9BE0000 00001405
	v_mov_b32_e32 v20, v57                                     // 00000000D874: 7E280339
	v_mov_b32_e32 v21, v61                                     // 00000000D878: 7E2A033D
	v_mov_b32_e32 v22, v65                                     // 00000000D87C: 7E2C0341
	v_mov_b32_e32 v23, v69                                     // 00000000D880: 7E2E0345
	ds_write_b128 v5, v[20:23] offset:1056                     // 00000000D884: D9BE0420 00001405
	v_mov_b32_e32 v20, v58                                     // 00000000D88C: 7E28033A
	v_mov_b32_e32 v21, v62                                     // 00000000D890: 7E2A033E
	v_mov_b32_e32 v22, v66                                     // 00000000D894: 7E2C0342
	v_mov_b32_e32 v23, v70                                     // 00000000D898: 7E2E0346
	ds_write_b128 v5, v[20:23] offset:2112                     // 00000000D89C: D9BE0840 00001405
	v_mov_b32_e32 v20, v59                                     // 00000000D8A4: 7E28033B
	v_mov_b32_e32 v21, v63                                     // 00000000D8A8: 7E2A033F
	v_mov_b32_e32 v22, v67                                     // 00000000D8AC: 7E2C0343
	v_mov_b32_e32 v23, v71                                     // 00000000D8B0: 7E2E0347
	ds_write_b128 v5, v[20:23] offset:3168                     // 00000000D8B4: D9BE0C60 00001405
	v_mov_b32_e32 v20, v72                                     // 00000000D8BC: 7E280348
	v_mov_b32_e32 v21, v76                                     // 00000000D8C0: 7E2A034C
	v_mov_b32_e32 v22, v80                                     // 00000000D8C4: 7E2C0350
	v_mov_b32_e32 v23, v84                                     // 00000000D8C8: 7E2E0354
	ds_write_b128 v5, v[20:23] offset:4224                     // 00000000D8CC: D9BE1080 00001405
	v_mov_b32_e32 v20, v73                                     // 00000000D8D4: 7E280349
	v_mov_b32_e32 v21, v77                                     // 00000000D8D8: 7E2A034D
	v_mov_b32_e32 v22, v81                                     // 00000000D8DC: 7E2C0351
	v_mov_b32_e32 v23, v85                                     // 00000000D8E0: 7E2E0355
	ds_write_b128 v5, v[20:23] offset:5280                     // 00000000D8E4: D9BE14A0 00001405
	v_mov_b32_e32 v20, v74                                     // 00000000D8EC: 7E28034A
	v_mov_b32_e32 v21, v78                                     // 00000000D8F0: 7E2A034E
	v_mov_b32_e32 v22, v82                                     // 00000000D8F4: 7E2C0352
	v_mov_b32_e32 v23, v86                                     // 00000000D8F8: 7E2E0356
	ds_write_b128 v5, v[20:23] offset:6336                     // 00000000D8FC: D9BE18C0 00001405
	v_mov_b32_e32 v20, v75                                     // 00000000D904: 7E28034B
	v_mov_b32_e32 v21, v79                                     // 00000000D908: 7E2A034F
	v_mov_b32_e32 v22, v83                                     // 00000000D90C: 7E2C0353
	v_mov_b32_e32 v23, v87                                     // 00000000D910: 7E2E0357
	ds_write_b128 v5, v[20:23] offset:7392                     // 00000000D914: D9BE1CE0 00001405
	s_waitcnt lgkmcnt(4)                                       // 00000000D91C: BF8CC47F
	ds_read_b128 v[56:59], v4                                  // 00000000D920: D9FE0000 38000004
	ds_read_b128 v[60:63], v4 offset:64                        // 00000000D928: D9FE0040 3C000004
	ds_read_b128 v[64:67], v4 offset:128                       // 00000000D930: D9FE0080 40000004
	ds_read_b128 v[68:71], v4 offset:192                       // 00000000D938: D9FE00C0 44000004
	s_waitcnt lgkmcnt(4)                                       // 00000000D940: BF8CC47F
	ds_read_b128 v[72:75], v4 offset:4224                      // 00000000D944: D9FE1080 48000004
	ds_read_b128 v[76:79], v4 offset:4288                      // 00000000D94C: D9FE10C0 4C000004
	ds_read_b128 v[80:83], v4 offset:4352                      // 00000000D954: D9FE1100 50000004
	ds_read_b128 v[84:87], v4 offset:4416                      // 00000000D95C: D9FE1140 54000004
	s_waitcnt lgkmcnt(0)                                       // 00000000D964: BF8CC07F
	v_mov_b32_e32 v18, v19                                     // 00000000D968: 7E240313
	buffer_store_dwordx4 v[56:59], v18, s[8:11], 0 offen       // 00000000D96C: E07C1000 80023812
	buffer_store_dwordx4 v[72:75], v18, s[8:11], 0 offen offset:256// 00000000D974: E07C1100 80024812
	v_add_u32_e32 v18, 0x2000, v18                             // 00000000D97C: 682424FF 00002000
	buffer_store_dwordx4 v[60:63], v18, s[8:11], 0 offen       // 00000000D984: E07C1000 80023C12
	buffer_store_dwordx4 v[76:79], v18, s[8:11], 0 offen offset:256// 00000000D98C: E07C1100 80024C12
	v_add_u32_e32 v18, 0x2000, v18                             // 00000000D994: 682424FF 00002000
	buffer_store_dwordx4 v[64:67], v18, s[8:11], 0 offen       // 00000000D99C: E07C1000 80024012
	buffer_store_dwordx4 v[80:83], v18, s[8:11], 0 offen offset:256// 00000000D9A4: E07C1100 80025012
	v_add_u32_e32 v18, 0x2000, v18                             // 00000000D9AC: 682424FF 00002000
	buffer_store_dwordx4 v[68:71], v18, s[8:11], 0 offen       // 00000000D9B4: E07C1000 80024412
	buffer_store_dwordx4 v[84:87], v18, s[8:11], 0 offen offset:256// 00000000D9BC: E07C1100 80025412
	v_add_u32_e32 v18, 0x2000, v18                             // 00000000D9C4: 682424FF 00002000
	v_mov_b32_e32 v20, v88                                     // 00000000D9CC: 7E280358
	v_mov_b32_e32 v21, v92                                     // 00000000D9D0: 7E2A035C
	v_mov_b32_e32 v22, v96                                     // 00000000D9D4: 7E2C0360
	v_mov_b32_e32 v23, v100                                    // 00000000D9D8: 7E2E0364
	ds_write_b128 v5, v[20:23]                                 // 00000000D9DC: D9BE0000 00001405
	v_mov_b32_e32 v20, v89                                     // 00000000D9E4: 7E280359
	v_mov_b32_e32 v21, v93                                     // 00000000D9E8: 7E2A035D
	v_mov_b32_e32 v22, v97                                     // 00000000D9EC: 7E2C0361
	v_mov_b32_e32 v23, v101                                    // 00000000D9F0: 7E2E0365
	ds_write_b128 v5, v[20:23] offset:1056                     // 00000000D9F4: D9BE0420 00001405
	v_mov_b32_e32 v20, v90                                     // 00000000D9FC: 7E28035A
	v_mov_b32_e32 v21, v94                                     // 00000000DA00: 7E2A035E
	v_mov_b32_e32 v22, v98                                     // 00000000DA04: 7E2C0362
	v_mov_b32_e32 v23, v102                                    // 00000000DA08: 7E2E0366
	ds_write_b128 v5, v[20:23] offset:2112                     // 00000000DA0C: D9BE0840 00001405
	v_mov_b32_e32 v20, v91                                     // 00000000DA14: 7E28035B
	v_mov_b32_e32 v21, v95                                     // 00000000DA18: 7E2A035F
	v_mov_b32_e32 v22, v99                                     // 00000000DA1C: 7E2C0363
	v_mov_b32_e32 v23, v103                                    // 00000000DA20: 7E2E0367
	ds_write_b128 v5, v[20:23] offset:3168                     // 00000000DA24: D9BE0C60 00001405
	v_mov_b32_e32 v20, v104                                    // 00000000DA2C: 7E280368
	v_mov_b32_e32 v21, v108                                    // 00000000DA30: 7E2A036C
	v_mov_b32_e32 v22, v112                                    // 00000000DA34: 7E2C0370
	v_mov_b32_e32 v23, v116                                    // 00000000DA38: 7E2E0374
	ds_write_b128 v5, v[20:23] offset:4224                     // 00000000DA3C: D9BE1080 00001405
	v_mov_b32_e32 v20, v105                                    // 00000000DA44: 7E280369
	v_mov_b32_e32 v21, v109                                    // 00000000DA48: 7E2A036D
	v_mov_b32_e32 v22, v113                                    // 00000000DA4C: 7E2C0371
	v_mov_b32_e32 v23, v117                                    // 00000000DA50: 7E2E0375
	ds_write_b128 v5, v[20:23] offset:5280                     // 00000000DA54: D9BE14A0 00001405
	v_mov_b32_e32 v20, v106                                    // 00000000DA5C: 7E28036A
	v_mov_b32_e32 v21, v110                                    // 00000000DA60: 7E2A036E
	v_mov_b32_e32 v22, v114                                    // 00000000DA64: 7E2C0372
	v_mov_b32_e32 v23, v118                                    // 00000000DA68: 7E2E0376
	ds_write_b128 v5, v[20:23] offset:6336                     // 00000000DA6C: D9BE18C0 00001405
	v_mov_b32_e32 v20, v107                                    // 00000000DA74: 7E28036B
	v_mov_b32_e32 v21, v111                                    // 00000000DA78: 7E2A036F
	v_mov_b32_e32 v22, v115                                    // 00000000DA7C: 7E2C0373
	v_mov_b32_e32 v23, v119                                    // 00000000DA80: 7E2E0377
	ds_write_b128 v5, v[20:23] offset:7392                     // 00000000DA84: D9BE1CE0 00001405
	s_waitcnt lgkmcnt(4)                                       // 00000000DA8C: BF8CC47F
	ds_read_b128 v[56:59], v4                                  // 00000000DA90: D9FE0000 38000004
	ds_read_b128 v[60:63], v4 offset:64                        // 00000000DA98: D9FE0040 3C000004
	ds_read_b128 v[64:67], v4 offset:128                       // 00000000DAA0: D9FE0080 40000004
	ds_read_b128 v[68:71], v4 offset:192                       // 00000000DAA8: D9FE00C0 44000004
	s_waitcnt lgkmcnt(4)                                       // 00000000DAB0: BF8CC47F
	ds_read_b128 v[72:75], v4 offset:4224                      // 00000000DAB4: D9FE1080 48000004
	ds_read_b128 v[76:79], v4 offset:4288                      // 00000000DABC: D9FE10C0 4C000004
	ds_read_b128 v[80:83], v4 offset:4352                      // 00000000DAC4: D9FE1100 50000004
	ds_read_b128 v[84:87], v4 offset:4416                      // 00000000DACC: D9FE1140 54000004
	s_waitcnt lgkmcnt(0)                                       // 00000000DAD4: BF8CC07F
	v_mov_b32_e32 v18, v19                                     // 00000000DAD8: 7E240313
	buffer_store_dwordx4 v[56:59], v18, s[8:11], 0 offen offset:512// 00000000DADC: E07C1200 80023812
	buffer_store_dwordx4 v[72:75], v18, s[8:11], 0 offen offset:768// 00000000DAE4: E07C1300 80024812
	v_add_u32_e32 v18, 0x2000, v18                             // 00000000DAEC: 682424FF 00002000
	buffer_store_dwordx4 v[60:63], v18, s[8:11], 0 offen offset:512// 00000000DAF4: E07C1200 80023C12
	buffer_store_dwordx4 v[76:79], v18, s[8:11], 0 offen offset:768// 00000000DAFC: E07C1300 80024C12
	v_add_u32_e32 v18, 0x2000, v18                             // 00000000DB04: 682424FF 00002000
	buffer_store_dwordx4 v[64:67], v18, s[8:11], 0 offen offset:512// 00000000DB0C: E07C1200 80024012
	buffer_store_dwordx4 v[80:83], v18, s[8:11], 0 offen offset:768// 00000000DB14: E07C1300 80025012
	v_add_u32_e32 v18, 0x2000, v18                             // 00000000DB1C: 682424FF 00002000
	buffer_store_dwordx4 v[68:71], v18, s[8:11], 0 offen offset:512// 00000000DB24: E07C1200 80024412
	buffer_store_dwordx4 v[84:87], v18, s[8:11], 0 offen offset:768// 00000000DB2C: E07C1300 80025412
	v_add_u32_e32 v18, 0x2000, v18                             // 00000000DB34: 682424FF 00002000
	v_mov_b32_e32 v20, v120                                    // 00000000DB3C: 7E280378
	v_mov_b32_e32 v21, v124                                    // 00000000DB40: 7E2A037C
	v_mov_b32_e32 v22, v128                                    // 00000000DB44: 7E2C0380
	v_mov_b32_e32 v23, v132                                    // 00000000DB48: 7E2E0384
	ds_write_b128 v5, v[20:23]                                 // 00000000DB4C: D9BE0000 00001405
	v_mov_b32_e32 v20, v121                                    // 00000000DB54: 7E280379
	v_mov_b32_e32 v21, v125                                    // 00000000DB58: 7E2A037D
	v_mov_b32_e32 v22, v129                                    // 00000000DB5C: 7E2C0381
	v_mov_b32_e32 v23, v133                                    // 00000000DB60: 7E2E0385
	ds_write_b128 v5, v[20:23] offset:1056                     // 00000000DB64: D9BE0420 00001405
	v_mov_b32_e32 v20, v122                                    // 00000000DB6C: 7E28037A
	v_mov_b32_e32 v21, v126                                    // 00000000DB70: 7E2A037E
	v_mov_b32_e32 v22, v130                                    // 00000000DB74: 7E2C0382
	v_mov_b32_e32 v23, v134                                    // 00000000DB78: 7E2E0386
	ds_write_b128 v5, v[20:23] offset:2112                     // 00000000DB7C: D9BE0840 00001405
	v_mov_b32_e32 v20, v123                                    // 00000000DB84: 7E28037B
	v_mov_b32_e32 v21, v127                                    // 00000000DB88: 7E2A037F
	v_mov_b32_e32 v22, v131                                    // 00000000DB8C: 7E2C0383
	v_mov_b32_e32 v23, v135                                    // 00000000DB90: 7E2E0387
	ds_write_b128 v5, v[20:23] offset:3168                     // 00000000DB94: D9BE0C60 00001405
	v_mov_b32_e32 v20, v136                                    // 00000000DB9C: 7E280388
	v_mov_b32_e32 v21, v140                                    // 00000000DBA0: 7E2A038C
	v_mov_b32_e32 v22, v144                                    // 00000000DBA4: 7E2C0390
	v_mov_b32_e32 v23, v148                                    // 00000000DBA8: 7E2E0394
	ds_write_b128 v5, v[20:23] offset:4224                     // 00000000DBAC: D9BE1080 00001405
	v_mov_b32_e32 v20, v137                                    // 00000000DBB4: 7E280389
	v_mov_b32_e32 v21, v141                                    // 00000000DBB8: 7E2A038D
	v_mov_b32_e32 v22, v145                                    // 00000000DBBC: 7E2C0391
	v_mov_b32_e32 v23, v149                                    // 00000000DBC0: 7E2E0395
	ds_write_b128 v5, v[20:23] offset:5280                     // 00000000DBC4: D9BE14A0 00001405
	v_mov_b32_e32 v20, v138                                    // 00000000DBCC: 7E28038A
	v_mov_b32_e32 v21, v142                                    // 00000000DBD0: 7E2A038E
	v_mov_b32_e32 v22, v146                                    // 00000000DBD4: 7E2C0392
	v_mov_b32_e32 v23, v150                                    // 00000000DBD8: 7E2E0396
	ds_write_b128 v5, v[20:23] offset:6336                     // 00000000DBDC: D9BE18C0 00001405
	v_mov_b32_e32 v20, v139                                    // 00000000DBE4: 7E28038B
	v_mov_b32_e32 v21, v143                                    // 00000000DBE8: 7E2A038F
	v_mov_b32_e32 v22, v147                                    // 00000000DBEC: 7E2C0393
	v_mov_b32_e32 v23, v151                                    // 00000000DBF0: 7E2E0397
	ds_write_b128 v5, v[20:23] offset:7392                     // 00000000DBF4: D9BE1CE0 00001405
	s_waitcnt lgkmcnt(4)                                       // 00000000DBFC: BF8CC47F
	ds_read_b128 v[56:59], v4                                  // 00000000DC00: D9FE0000 38000004
	ds_read_b128 v[60:63], v4 offset:64                        // 00000000DC08: D9FE0040 3C000004
	ds_read_b128 v[64:67], v4 offset:128                       // 00000000DC10: D9FE0080 40000004
	ds_read_b128 v[68:71], v4 offset:192                       // 00000000DC18: D9FE00C0 44000004
	s_waitcnt lgkmcnt(4)                                       // 00000000DC20: BF8CC47F
	ds_read_b128 v[72:75], v4 offset:4224                      // 00000000DC24: D9FE1080 48000004
	ds_read_b128 v[76:79], v4 offset:4288                      // 00000000DC2C: D9FE10C0 4C000004
	ds_read_b128 v[80:83], v4 offset:4352                      // 00000000DC34: D9FE1100 50000004
	ds_read_b128 v[84:87], v4 offset:4416                      // 00000000DC3C: D9FE1140 54000004
	s_waitcnt lgkmcnt(0)                                       // 00000000DC44: BF8CC07F
	v_mov_b32_e32 v18, v19                                     // 00000000DC48: 7E240313
	buffer_store_dwordx4 v[56:59], v18, s[8:11], 0 offen offset:1024// 00000000DC4C: E07C1400 80023812
	buffer_store_dwordx4 v[72:75], v18, s[8:11], 0 offen offset:1280// 00000000DC54: E07C1500 80024812
	v_add_u32_e32 v18, 0x2000, v18                             // 00000000DC5C: 682424FF 00002000
	buffer_store_dwordx4 v[60:63], v18, s[8:11], 0 offen offset:1024// 00000000DC64: E07C1400 80023C12
	buffer_store_dwordx4 v[76:79], v18, s[8:11], 0 offen offset:1280// 00000000DC6C: E07C1500 80024C12
	v_add_u32_e32 v18, 0x2000, v18                             // 00000000DC74: 682424FF 00002000
	buffer_store_dwordx4 v[64:67], v18, s[8:11], 0 offen offset:1024// 00000000DC7C: E07C1400 80024012
	buffer_store_dwordx4 v[80:83], v18, s[8:11], 0 offen offset:1280// 00000000DC84: E07C1500 80025012
	v_add_u32_e32 v18, 0x2000, v18                             // 00000000DC8C: 682424FF 00002000
	buffer_store_dwordx4 v[68:71], v18, s[8:11], 0 offen offset:1024// 00000000DC94: E07C1400 80024412
	buffer_store_dwordx4 v[84:87], v18, s[8:11], 0 offen offset:1280// 00000000DC9C: E07C1500 80025412
	v_add_u32_e32 v18, 0x2000, v18                             // 00000000DCA4: 682424FF 00002000
	v_mov_b32_e32 v20, v152                                    // 00000000DCAC: 7E280398
	v_accvgpr_read_b32 v21, a144                               // 00000000DCB0: D3D84015 18000190
	v_accvgpr_read_b32 v22, a148                               // 00000000DCB8: D3D84016 18000194
	v_accvgpr_read_b32 v23, a152                               // 00000000DCC0: D3D84017 18000198
	ds_write_b128 v5, v[20:23]                                 // 00000000DCC8: D9BE0000 00001405
	v_mov_b32_e32 v20, v153                                    // 00000000DCD0: 7E280399
	v_accvgpr_read_b32 v21, a145                               // 00000000DCD4: D3D84015 18000191
	v_accvgpr_read_b32 v22, a149                               // 00000000DCDC: D3D84016 18000195
	v_accvgpr_read_b32 v23, a153                               // 00000000DCE4: D3D84017 18000199
	ds_write_b128 v5, v[20:23] offset:1056                     // 00000000DCEC: D9BE0420 00001405
	v_mov_b32_e32 v20, v154                                    // 00000000DCF4: 7E28039A
	v_accvgpr_read_b32 v21, a146                               // 00000000DCF8: D3D84015 18000192
	v_accvgpr_read_b32 v22, a150                               // 00000000DD00: D3D84016 18000196
	v_accvgpr_read_b32 v23, a154                               // 00000000DD08: D3D84017 1800019A
	ds_write_b128 v5, v[20:23] offset:2112                     // 00000000DD10: D9BE0840 00001405
	v_mov_b32_e32 v20, v155                                    // 00000000DD18: 7E28039B
	v_accvgpr_read_b32 v21, a147                               // 00000000DD1C: D3D84015 18000193
	v_accvgpr_read_b32 v22, a151                               // 00000000DD24: D3D84016 18000197
	v_accvgpr_read_b32 v23, a155                               // 00000000DD2C: D3D84017 1800019B
	ds_write_b128 v5, v[20:23] offset:3168                     // 00000000DD34: D9BE0C60 00001405
	v_accvgpr_read_b32 v20, a156                               // 00000000DD3C: D3D84014 1800019C
	v_accvgpr_read_b32 v21, a160                               // 00000000DD44: D3D84015 180001A0
	v_accvgpr_read_b32 v22, a164                               // 00000000DD4C: D3D84016 180001A4
	v_accvgpr_read_b32 v23, a168                               // 00000000DD54: D3D84017 180001A8
	ds_write_b128 v5, v[20:23] offset:4224                     // 00000000DD5C: D9BE1080 00001405
	v_accvgpr_read_b32 v20, a157                               // 00000000DD64: D3D84014 1800019D
	v_accvgpr_read_b32 v21, a161                               // 00000000DD6C: D3D84015 180001A1
	v_accvgpr_read_b32 v22, a165                               // 00000000DD74: D3D84016 180001A5
	v_accvgpr_read_b32 v23, a169                               // 00000000DD7C: D3D84017 180001A9
	ds_write_b128 v5, v[20:23] offset:5280                     // 00000000DD84: D9BE14A0 00001405
	v_accvgpr_read_b32 v20, a158                               // 00000000DD8C: D3D84014 1800019E
	v_accvgpr_read_b32 v21, a162                               // 00000000DD94: D3D84015 180001A2
	v_accvgpr_read_b32 v22, a166                               // 00000000DD9C: D3D84016 180001A6
	v_accvgpr_read_b32 v23, a170                               // 00000000DDA4: D3D84017 180001AA
	ds_write_b128 v5, v[20:23] offset:6336                     // 00000000DDAC: D9BE18C0 00001405
	v_accvgpr_read_b32 v20, a159                               // 00000000DDB4: D3D84014 1800019F
	v_accvgpr_read_b32 v21, a163                               // 00000000DDBC: D3D84015 180001A3
	v_accvgpr_read_b32 v22, a167                               // 00000000DDC4: D3D84016 180001A7
	v_accvgpr_read_b32 v23, a171                               // 00000000DDCC: D3D84017 180001AB
	ds_write_b128 v5, v[20:23] offset:7392                     // 00000000DDD4: D9BE1CE0 00001405
	s_waitcnt lgkmcnt(4)                                       // 00000000DDDC: BF8CC47F
	ds_read_b128 v[56:59], v4                                  // 00000000DDE0: D9FE0000 38000004
	ds_read_b128 v[60:63], v4 offset:64                        // 00000000DDE8: D9FE0040 3C000004
	ds_read_b128 v[64:67], v4 offset:128                       // 00000000DDF0: D9FE0080 40000004
	ds_read_b128 v[68:71], v4 offset:192                       // 00000000DDF8: D9FE00C0 44000004
	s_waitcnt lgkmcnt(4)                                       // 00000000DE00: BF8CC47F
	ds_read_b128 v[72:75], v4 offset:4224                      // 00000000DE04: D9FE1080 48000004
	ds_read_b128 v[76:79], v4 offset:4288                      // 00000000DE0C: D9FE10C0 4C000004
	ds_read_b128 v[80:83], v4 offset:4352                      // 00000000DE14: D9FE1100 50000004
	ds_read_b128 v[84:87], v4 offset:4416                      // 00000000DE1C: D9FE1140 54000004
	s_waitcnt lgkmcnt(0)                                       // 00000000DE24: BF8CC07F
	v_mov_b32_e32 v18, v19                                     // 00000000DE28: 7E240313
	buffer_store_dwordx4 v[56:59], v18, s[8:11], 0 offen offset:1536// 00000000DE2C: E07C1600 80023812
	buffer_store_dwordx4 v[72:75], v18, s[8:11], 0 offen offset:1792// 00000000DE34: E07C1700 80024812
	v_add_u32_e32 v18, 0x2000, v18                             // 00000000DE3C: 682424FF 00002000
	buffer_store_dwordx4 v[60:63], v18, s[8:11], 0 offen offset:1536// 00000000DE44: E07C1600 80023C12
	buffer_store_dwordx4 v[76:79], v18, s[8:11], 0 offen offset:1792// 00000000DE4C: E07C1700 80024C12
	v_add_u32_e32 v18, 0x2000, v18                             // 00000000DE54: 682424FF 00002000
	buffer_store_dwordx4 v[64:67], v18, s[8:11], 0 offen offset:1536// 00000000DE5C: E07C1600 80024012
	buffer_store_dwordx4 v[80:83], v18, s[8:11], 0 offen offset:1792// 00000000DE64: E07C1700 80025012
	v_add_u32_e32 v18, 0x2000, v18                             // 00000000DE6C: 682424FF 00002000
	buffer_store_dwordx4 v[68:71], v18, s[8:11], 0 offen offset:1536// 00000000DE74: E07C1600 80024412
	buffer_store_dwordx4 v[84:87], v18, s[8:11], 0 offen offset:1792// 00000000DE7C: E07C1700 80025412
	v_add_u32_e32 v18, 0x2000, v18                             // 00000000DE84: 682424FF 00002000
	buffer_store_dword v24, v26, s[12:15], 0 offen             // 00000000DE8C: E0701000 8003181A
	s_mov_b32 s56, 0x100                                       // 00000000DE94: BEB800FF 00000100
	v_add_u32_e64 v26, v26, s56                                // 00000000DE9C: D134001A 0000711A
	s_mov_b32 s56, 0x20000                                     // 00000000DEA4: BEB800FF 00020000
	v_add_u32_e64 v19, v19, s56                                // 00000000DEAC: D1340013 00007113
	v_mov_b32_e32 v20, v156                                    // 00000000DEB4: 7E28039C
	v_mov_b32_e32 v21, v160                                    // 00000000DEB8: 7E2A03A0
	v_mov_b32_e32 v22, v164                                    // 00000000DEBC: 7E2C03A4
	v_mov_b32_e32 v23, v168                                    // 00000000DEC0: 7E2E03A8
	ds_write_b128 v5, v[20:23]                                 // 00000000DEC4: D9BE0000 00001405
	v_mov_b32_e32 v20, v157                                    // 00000000DECC: 7E28039D
	v_mov_b32_e32 v21, v161                                    // 00000000DED0: 7E2A03A1
	v_mov_b32_e32 v22, v165                                    // 00000000DED4: 7E2C03A5
	v_mov_b32_e32 v23, v169                                    // 00000000DED8: 7E2E03A9
	ds_write_b128 v5, v[20:23] offset:1056                     // 00000000DEDC: D9BE0420 00001405
	v_mov_b32_e32 v20, v158                                    // 00000000DEE4: 7E28039E
	v_mov_b32_e32 v21, v162                                    // 00000000DEE8: 7E2A03A2
	v_mov_b32_e32 v22, v166                                    // 00000000DEEC: 7E2C03A6
	v_mov_b32_e32 v23, v170                                    // 00000000DEF0: 7E2E03AA
	ds_write_b128 v5, v[20:23] offset:2112                     // 00000000DEF4: D9BE0840 00001405
	v_mov_b32_e32 v20, v159                                    // 00000000DEFC: 7E28039F
	v_mov_b32_e32 v21, v163                                    // 00000000DF00: 7E2A03A3
	v_mov_b32_e32 v22, v167                                    // 00000000DF04: 7E2C03A7
	v_mov_b32_e32 v23, v171                                    // 00000000DF08: 7E2E03AB
	ds_write_b128 v5, v[20:23] offset:3168                     // 00000000DF0C: D9BE0C60 00001405
	v_mov_b32_e32 v20, v172                                    // 00000000DF14: 7E2803AC
	v_mov_b32_e32 v21, v176                                    // 00000000DF18: 7E2A03B0
	v_mov_b32_e32 v22, v180                                    // 00000000DF1C: 7E2C03B4
	v_mov_b32_e32 v23, v184                                    // 00000000DF20: 7E2E03B8
	ds_write_b128 v5, v[20:23] offset:4224                     // 00000000DF24: D9BE1080 00001405
	v_mov_b32_e32 v20, v173                                    // 00000000DF2C: 7E2803AD
	v_mov_b32_e32 v21, v177                                    // 00000000DF30: 7E2A03B1
	v_mov_b32_e32 v22, v181                                    // 00000000DF34: 7E2C03B5
	v_mov_b32_e32 v23, v185                                    // 00000000DF38: 7E2E03B9
	ds_write_b128 v5, v[20:23] offset:5280                     // 00000000DF3C: D9BE14A0 00001405
	v_mov_b32_e32 v20, v174                                    // 00000000DF44: 7E2803AE
	v_mov_b32_e32 v21, v178                                    // 00000000DF48: 7E2A03B2
	v_mov_b32_e32 v22, v182                                    // 00000000DF4C: 7E2C03B6
	v_mov_b32_e32 v23, v186                                    // 00000000DF50: 7E2E03BA
	ds_write_b128 v5, v[20:23] offset:6336                     // 00000000DF54: D9BE18C0 00001405
	v_mov_b32_e32 v20, v175                                    // 00000000DF5C: 7E2803AF
	v_mov_b32_e32 v21, v179                                    // 00000000DF60: 7E2A03B3
	v_mov_b32_e32 v22, v183                                    // 00000000DF64: 7E2C03B7
	v_mov_b32_e32 v23, v187                                    // 00000000DF68: 7E2E03BB
	ds_write_b128 v5, v[20:23] offset:7392                     // 00000000DF6C: D9BE1CE0 00001405
	s_waitcnt lgkmcnt(4)                                       // 00000000DF74: BF8CC47F
	ds_read_b128 v[56:59], v4                                  // 00000000DF78: D9FE0000 38000004
	ds_read_b128 v[60:63], v4 offset:64                        // 00000000DF80: D9FE0040 3C000004
	ds_read_b128 v[64:67], v4 offset:128                       // 00000000DF88: D9FE0080 40000004
	ds_read_b128 v[68:71], v4 offset:192                       // 00000000DF90: D9FE00C0 44000004
	s_waitcnt lgkmcnt(4)                                       // 00000000DF98: BF8CC47F
	ds_read_b128 v[72:75], v4 offset:4224                      // 00000000DF9C: D9FE1080 48000004
	ds_read_b128 v[76:79], v4 offset:4288                      // 00000000DFA4: D9FE10C0 4C000004
	ds_read_b128 v[80:83], v4 offset:4352                      // 00000000DFAC: D9FE1100 50000004
	ds_read_b128 v[84:87], v4 offset:4416                      // 00000000DFB4: D9FE1140 54000004
	s_waitcnt lgkmcnt(0)                                       // 00000000DFBC: BF8CC07F
	v_mov_b32_e32 v18, v19                                     // 00000000DFC0: 7E240313
	buffer_store_dwordx4 v[56:59], v18, s[8:11], 0 offen       // 00000000DFC4: E07C1000 80023812
	buffer_store_dwordx4 v[72:75], v18, s[8:11], 0 offen offset:256// 00000000DFCC: E07C1100 80024812
	v_add_u32_e32 v18, 0x2000, v18                             // 00000000DFD4: 682424FF 00002000
	buffer_store_dwordx4 v[60:63], v18, s[8:11], 0 offen       // 00000000DFDC: E07C1000 80023C12
	buffer_store_dwordx4 v[76:79], v18, s[8:11], 0 offen offset:256// 00000000DFE4: E07C1100 80024C12
	v_add_u32_e32 v18, 0x2000, v18                             // 00000000DFEC: 682424FF 00002000
	buffer_store_dwordx4 v[64:67], v18, s[8:11], 0 offen       // 00000000DFF4: E07C1000 80024012
	buffer_store_dwordx4 v[80:83], v18, s[8:11], 0 offen offset:256// 00000000DFFC: E07C1100 80025012
	v_add_u32_e32 v18, 0x2000, v18                             // 00000000E004: 682424FF 00002000
	buffer_store_dwordx4 v[68:71], v18, s[8:11], 0 offen       // 00000000E00C: E07C1000 80024412
	buffer_store_dwordx4 v[84:87], v18, s[8:11], 0 offen offset:256// 00000000E014: E07C1100 80025412
	v_add_u32_e32 v18, 0x2000, v18                             // 00000000E01C: 682424FF 00002000
	v_mov_b32_e32 v20, v188                                    // 00000000E024: 7E2803BC
	v_mov_b32_e32 v21, v192                                    // 00000000E028: 7E2A03C0
	v_mov_b32_e32 v22, v196                                    // 00000000E02C: 7E2C03C4
	v_mov_b32_e32 v23, v200                                    // 00000000E030: 7E2E03C8
	ds_write_b128 v5, v[20:23]                                 // 00000000E034: D9BE0000 00001405
	v_mov_b32_e32 v20, v189                                    // 00000000E03C: 7E2803BD
	v_mov_b32_e32 v21, v193                                    // 00000000E040: 7E2A03C1
	v_mov_b32_e32 v22, v197                                    // 00000000E044: 7E2C03C5
	v_mov_b32_e32 v23, v201                                    // 00000000E048: 7E2E03C9
	ds_write_b128 v5, v[20:23] offset:1056                     // 00000000E04C: D9BE0420 00001405
	v_mov_b32_e32 v20, v190                                    // 00000000E054: 7E2803BE
	v_mov_b32_e32 v21, v194                                    // 00000000E058: 7E2A03C2
	v_mov_b32_e32 v22, v198                                    // 00000000E05C: 7E2C03C6
	v_mov_b32_e32 v23, v202                                    // 00000000E060: 7E2E03CA
	ds_write_b128 v5, v[20:23] offset:2112                     // 00000000E064: D9BE0840 00001405
	v_mov_b32_e32 v20, v191                                    // 00000000E06C: 7E2803BF
	v_mov_b32_e32 v21, v195                                    // 00000000E070: 7E2A03C3
	v_mov_b32_e32 v22, v199                                    // 00000000E074: 7E2C03C7
	v_mov_b32_e32 v23, v203                                    // 00000000E078: 7E2E03CB
	ds_write_b128 v5, v[20:23] offset:3168                     // 00000000E07C: D9BE0C60 00001405
	v_mov_b32_e32 v20, v204                                    // 00000000E084: 7E2803CC
	v_mov_b32_e32 v21, v208                                    // 00000000E088: 7E2A03D0
	v_mov_b32_e32 v22, v212                                    // 00000000E08C: 7E2C03D4
	v_mov_b32_e32 v23, v216                                    // 00000000E090: 7E2E03D8
	ds_write_b128 v5, v[20:23] offset:4224                     // 00000000E094: D9BE1080 00001405
	v_mov_b32_e32 v20, v205                                    // 00000000E09C: 7E2803CD
	v_mov_b32_e32 v21, v209                                    // 00000000E0A0: 7E2A03D1
	v_mov_b32_e32 v22, v213                                    // 00000000E0A4: 7E2C03D5
	v_mov_b32_e32 v23, v217                                    // 00000000E0A8: 7E2E03D9
	ds_write_b128 v5, v[20:23] offset:5280                     // 00000000E0AC: D9BE14A0 00001405
	v_mov_b32_e32 v20, v206                                    // 00000000E0B4: 7E2803CE
	v_mov_b32_e32 v21, v210                                    // 00000000E0B8: 7E2A03D2
	v_mov_b32_e32 v22, v214                                    // 00000000E0BC: 7E2C03D6
	v_mov_b32_e32 v23, v218                                    // 00000000E0C0: 7E2E03DA
	ds_write_b128 v5, v[20:23] offset:6336                     // 00000000E0C4: D9BE18C0 00001405
	v_mov_b32_e32 v20, v207                                    // 00000000E0CC: 7E2803CF
	v_mov_b32_e32 v21, v211                                    // 00000000E0D0: 7E2A03D3
	v_mov_b32_e32 v22, v215                                    // 00000000E0D4: 7E2C03D7
	v_mov_b32_e32 v23, v219                                    // 00000000E0D8: 7E2E03DB
	ds_write_b128 v5, v[20:23] offset:7392                     // 00000000E0DC: D9BE1CE0 00001405
	s_waitcnt lgkmcnt(4)                                       // 00000000E0E4: BF8CC47F
	ds_read_b128 v[56:59], v4                                  // 00000000E0E8: D9FE0000 38000004
	ds_read_b128 v[60:63], v4 offset:64                        // 00000000E0F0: D9FE0040 3C000004
	ds_read_b128 v[64:67], v4 offset:128                       // 00000000E0F8: D9FE0080 40000004
	ds_read_b128 v[68:71], v4 offset:192                       // 00000000E100: D9FE00C0 44000004
	s_waitcnt lgkmcnt(4)                                       // 00000000E108: BF8CC47F
	ds_read_b128 v[72:75], v4 offset:4224                      // 00000000E10C: D9FE1080 48000004
	ds_read_b128 v[76:79], v4 offset:4288                      // 00000000E114: D9FE10C0 4C000004
	ds_read_b128 v[80:83], v4 offset:4352                      // 00000000E11C: D9FE1100 50000004
	ds_read_b128 v[84:87], v4 offset:4416                      // 00000000E124: D9FE1140 54000004
	s_waitcnt lgkmcnt(0)                                       // 00000000E12C: BF8CC07F
	v_mov_b32_e32 v18, v19                                     // 00000000E130: 7E240313
	buffer_store_dwordx4 v[56:59], v18, s[8:11], 0 offen offset:512// 00000000E134: E07C1200 80023812
	buffer_store_dwordx4 v[72:75], v18, s[8:11], 0 offen offset:768// 00000000E13C: E07C1300 80024812
	v_add_u32_e32 v18, 0x2000, v18                             // 00000000E144: 682424FF 00002000
	buffer_store_dwordx4 v[60:63], v18, s[8:11], 0 offen offset:512// 00000000E14C: E07C1200 80023C12
	buffer_store_dwordx4 v[76:79], v18, s[8:11], 0 offen offset:768// 00000000E154: E07C1300 80024C12
	v_add_u32_e32 v18, 0x2000, v18                             // 00000000E15C: 682424FF 00002000
	buffer_store_dwordx4 v[64:67], v18, s[8:11], 0 offen offset:512// 00000000E164: E07C1200 80024012
	buffer_store_dwordx4 v[80:83], v18, s[8:11], 0 offen offset:768// 00000000E16C: E07C1300 80025012
	v_add_u32_e32 v18, 0x2000, v18                             // 00000000E174: 682424FF 00002000
	buffer_store_dwordx4 v[68:71], v18, s[8:11], 0 offen offset:512// 00000000E17C: E07C1200 80024412
	buffer_store_dwordx4 v[84:87], v18, s[8:11], 0 offen offset:768// 00000000E184: E07C1300 80025412
	v_add_u32_e32 v18, 0x2000, v18                             // 00000000E18C: 682424FF 00002000
	v_mov_b32_e32 v20, v220                                    // 00000000E194: 7E2803DC
	v_mov_b32_e32 v21, v224                                    // 00000000E198: 7E2A03E0
	v_mov_b32_e32 v22, v228                                    // 00000000E19C: 7E2C03E4
	v_mov_b32_e32 v23, v232                                    // 00000000E1A0: 7E2E03E8
	ds_write_b128 v5, v[20:23]                                 // 00000000E1A4: D9BE0000 00001405
	v_mov_b32_e32 v20, v221                                    // 00000000E1AC: 7E2803DD
	v_mov_b32_e32 v21, v225                                    // 00000000E1B0: 7E2A03E1
	v_mov_b32_e32 v22, v229                                    // 00000000E1B4: 7E2C03E5
	v_mov_b32_e32 v23, v233                                    // 00000000E1B8: 7E2E03E9
	ds_write_b128 v5, v[20:23] offset:1056                     // 00000000E1BC: D9BE0420 00001405
	v_mov_b32_e32 v20, v222                                    // 00000000E1C4: 7E2803DE
	v_mov_b32_e32 v21, v226                                    // 00000000E1C8: 7E2A03E2
	v_mov_b32_e32 v22, v230                                    // 00000000E1CC: 7E2C03E6
	v_mov_b32_e32 v23, v234                                    // 00000000E1D0: 7E2E03EA
	ds_write_b128 v5, v[20:23] offset:2112                     // 00000000E1D4: D9BE0840 00001405
	v_mov_b32_e32 v20, v223                                    // 00000000E1DC: 7E2803DF
	v_mov_b32_e32 v21, v227                                    // 00000000E1E0: 7E2A03E3
	v_mov_b32_e32 v22, v231                                    // 00000000E1E4: 7E2C03E7
	v_mov_b32_e32 v23, v235                                    // 00000000E1E8: 7E2E03EB
	ds_write_b128 v5, v[20:23] offset:3168                     // 00000000E1EC: D9BE0C60 00001405
	v_mov_b32_e32 v20, v236                                    // 00000000E1F4: 7E2803EC
	v_mov_b32_e32 v21, v240                                    // 00000000E1F8: 7E2A03F0
	v_mov_b32_e32 v22, v244                                    // 00000000E1FC: 7E2C03F4
	v_mov_b32_e32 v23, v248                                    // 00000000E200: 7E2E03F8
	ds_write_b128 v5, v[20:23] offset:4224                     // 00000000E204: D9BE1080 00001405
	v_mov_b32_e32 v20, v237                                    // 00000000E20C: 7E2803ED
	v_mov_b32_e32 v21, v241                                    // 00000000E210: 7E2A03F1
	v_mov_b32_e32 v22, v245                                    // 00000000E214: 7E2C03F5
	v_mov_b32_e32 v23, v249                                    // 00000000E218: 7E2E03F9
	ds_write_b128 v5, v[20:23] offset:5280                     // 00000000E21C: D9BE14A0 00001405
	v_mov_b32_e32 v20, v238                                    // 00000000E224: 7E2803EE
	v_mov_b32_e32 v21, v242                                    // 00000000E228: 7E2A03F2
	v_mov_b32_e32 v22, v246                                    // 00000000E22C: 7E2C03F6
	v_mov_b32_e32 v23, v250                                    // 00000000E230: 7E2E03FA
	ds_write_b128 v5, v[20:23] offset:6336                     // 00000000E234: D9BE18C0 00001405
	v_mov_b32_e32 v20, v239                                    // 00000000E23C: 7E2803EF
	v_mov_b32_e32 v21, v243                                    // 00000000E240: 7E2A03F3
	v_mov_b32_e32 v22, v247                                    // 00000000E244: 7E2C03F7
	v_mov_b32_e32 v23, v251                                    // 00000000E248: 7E2E03FB
	ds_write_b128 v5, v[20:23] offset:7392                     // 00000000E24C: D9BE1CE0 00001405
	s_waitcnt lgkmcnt(4)                                       // 00000000E254: BF8CC47F
	ds_read_b128 v[56:59], v4                                  // 00000000E258: D9FE0000 38000004
	ds_read_b128 v[60:63], v4 offset:64                        // 00000000E260: D9FE0040 3C000004
	ds_read_b128 v[64:67], v4 offset:128                       // 00000000E268: D9FE0080 40000004
	ds_read_b128 v[68:71], v4 offset:192                       // 00000000E270: D9FE00C0 44000004
	s_waitcnt lgkmcnt(4)                                       // 00000000E278: BF8CC47F
	ds_read_b128 v[72:75], v4 offset:4224                      // 00000000E27C: D9FE1080 48000004
	ds_read_b128 v[76:79], v4 offset:4288                      // 00000000E284: D9FE10C0 4C000004
	ds_read_b128 v[80:83], v4 offset:4352                      // 00000000E28C: D9FE1100 50000004
	ds_read_b128 v[84:87], v4 offset:4416                      // 00000000E294: D9FE1140 54000004
	s_waitcnt lgkmcnt(0)                                       // 00000000E29C: BF8CC07F
	v_mov_b32_e32 v18, v19                                     // 00000000E2A0: 7E240313
	buffer_store_dwordx4 v[56:59], v18, s[8:11], 0 offen offset:1024// 00000000E2A4: E07C1400 80023812
	buffer_store_dwordx4 v[72:75], v18, s[8:11], 0 offen offset:1280// 00000000E2AC: E07C1500 80024812
	v_add_u32_e32 v18, 0x2000, v18                             // 00000000E2B4: 682424FF 00002000
	buffer_store_dwordx4 v[60:63], v18, s[8:11], 0 offen offset:1024// 00000000E2BC: E07C1400 80023C12
	buffer_store_dwordx4 v[76:79], v18, s[8:11], 0 offen offset:1280// 00000000E2C4: E07C1500 80024C12
	v_add_u32_e32 v18, 0x2000, v18                             // 00000000E2CC: 682424FF 00002000
	buffer_store_dwordx4 v[64:67], v18, s[8:11], 0 offen offset:1024// 00000000E2D4: E07C1400 80024012
	buffer_store_dwordx4 v[80:83], v18, s[8:11], 0 offen offset:1280// 00000000E2DC: E07C1500 80025012
	v_add_u32_e32 v18, 0x2000, v18                             // 00000000E2E4: 682424FF 00002000
	buffer_store_dwordx4 v[68:71], v18, s[8:11], 0 offen offset:1024// 00000000E2EC: E07C1400 80024412
	buffer_store_dwordx4 v[84:87], v18, s[8:11], 0 offen offset:1280// 00000000E2F4: E07C1500 80025412
	v_add_u32_e32 v18, 0x2000, v18                             // 00000000E2FC: 682424FF 00002000
	v_mov_b32_e32 v20, v252                                    // 00000000E304: 7E2803FC
	v_accvgpr_read_b32 v21, a172                               // 00000000E308: D3D84015 180001AC
	v_accvgpr_read_b32 v22, a176                               // 00000000E310: D3D84016 180001B0
	v_accvgpr_read_b32 v23, a180                               // 00000000E318: D3D84017 180001B4
	ds_write_b128 v5, v[20:23]                                 // 00000000E320: D9BE0000 00001405
	v_mov_b32_e32 v20, v253                                    // 00000000E328: 7E2803FD
	v_accvgpr_read_b32 v21, a173                               // 00000000E32C: D3D84015 180001AD
	v_accvgpr_read_b32 v22, a177                               // 00000000E334: D3D84016 180001B1
	v_accvgpr_read_b32 v23, a181                               // 00000000E33C: D3D84017 180001B5
	ds_write_b128 v5, v[20:23] offset:1056                     // 00000000E344: D9BE0420 00001405
	v_mov_b32_e32 v20, v254                                    // 00000000E34C: 7E2803FE
	v_accvgpr_read_b32 v21, a174                               // 00000000E350: D3D84015 180001AE
	v_accvgpr_read_b32 v22, a178                               // 00000000E358: D3D84016 180001B2
	v_accvgpr_read_b32 v23, a182                               // 00000000E360: D3D84017 180001B6
	ds_write_b128 v5, v[20:23] offset:2112                     // 00000000E368: D9BE0840 00001405
	v_mov_b32_e32 v20, v255                                    // 00000000E370: 7E2803FF
	v_accvgpr_read_b32 v21, a175                               // 00000000E374: D3D84015 180001AF
	v_accvgpr_read_b32 v22, a179                               // 00000000E37C: D3D84016 180001B3
	v_accvgpr_read_b32 v23, a183                               // 00000000E384: D3D84017 180001B7
	ds_write_b128 v5, v[20:23] offset:3168                     // 00000000E38C: D9BE0C60 00001405
	v_accvgpr_read_b32 v20, a184                               // 00000000E394: D3D84014 180001B8
	v_accvgpr_read_b32 v21, a188                               // 00000000E39C: D3D84015 180001BC
	v_accvgpr_read_b32 v22, a192                               // 00000000E3A4: D3D84016 180001C0
	v_accvgpr_read_b32 v23, a196                               // 00000000E3AC: D3D84017 180001C4
	ds_write_b128 v5, v[20:23] offset:4224                     // 00000000E3B4: D9BE1080 00001405
	v_accvgpr_read_b32 v20, a185                               // 00000000E3BC: D3D84014 180001B9
	v_accvgpr_read_b32 v21, a189                               // 00000000E3C4: D3D84015 180001BD
	v_accvgpr_read_b32 v22, a193                               // 00000000E3CC: D3D84016 180001C1
	v_accvgpr_read_b32 v23, a197                               // 00000000E3D4: D3D84017 180001C5
	ds_write_b128 v5, v[20:23] offset:5280                     // 00000000E3DC: D9BE14A0 00001405
	v_accvgpr_read_b32 v20, a186                               // 00000000E3E4: D3D84014 180001BA
	v_accvgpr_read_b32 v21, a190                               // 00000000E3EC: D3D84015 180001BE
	v_accvgpr_read_b32 v22, a194                               // 00000000E3F4: D3D84016 180001C2
	v_accvgpr_read_b32 v23, a198                               // 00000000E3FC: D3D84017 180001C6
	ds_write_b128 v5, v[20:23] offset:6336                     // 00000000E404: D9BE18C0 00001405
	v_accvgpr_read_b32 v20, a187                               // 00000000E40C: D3D84014 180001BB
	v_accvgpr_read_b32 v21, a191                               // 00000000E414: D3D84015 180001BF
	v_accvgpr_read_b32 v22, a195                               // 00000000E41C: D3D84016 180001C3
	v_accvgpr_read_b32 v23, a199                               // 00000000E424: D3D84017 180001C7
	ds_write_b128 v5, v[20:23] offset:7392                     // 00000000E42C: D9BE1CE0 00001405
	s_waitcnt lgkmcnt(4)                                       // 00000000E434: BF8CC47F
	ds_read_b128 v[56:59], v4                                  // 00000000E438: D9FE0000 38000004
	ds_read_b128 v[60:63], v4 offset:64                        // 00000000E440: D9FE0040 3C000004
	ds_read_b128 v[64:67], v4 offset:128                       // 00000000E448: D9FE0080 40000004
	ds_read_b128 v[68:71], v4 offset:192                       // 00000000E450: D9FE00C0 44000004
	s_waitcnt lgkmcnt(4)                                       // 00000000E458: BF8CC47F
	ds_read_b128 v[72:75], v4 offset:4224                      // 00000000E45C: D9FE1080 48000004
	ds_read_b128 v[76:79], v4 offset:4288                      // 00000000E464: D9FE10C0 4C000004
	ds_read_b128 v[80:83], v4 offset:4352                      // 00000000E46C: D9FE1100 50000004
	ds_read_b128 v[84:87], v4 offset:4416                      // 00000000E474: D9FE1140 54000004
	s_waitcnt lgkmcnt(0)                                       // 00000000E47C: BF8CC07F
	v_mov_b32_e32 v18, v19                                     // 00000000E480: 7E240313
	buffer_store_dwordx4 v[56:59], v18, s[8:11], 0 offen offset:1536// 00000000E484: E07C1600 80023812
	buffer_store_dwordx4 v[72:75], v18, s[8:11], 0 offen offset:1792// 00000000E48C: E07C1700 80024812
	v_add_u32_e32 v18, 0x2000, v18                             // 00000000E494: 682424FF 00002000
	buffer_store_dwordx4 v[60:63], v18, s[8:11], 0 offen offset:1536// 00000000E49C: E07C1600 80023C12
	buffer_store_dwordx4 v[76:79], v18, s[8:11], 0 offen offset:1792// 00000000E4A4: E07C1700 80024C12
	v_add_u32_e32 v18, 0x2000, v18                             // 00000000E4AC: 682424FF 00002000
	buffer_store_dwordx4 v[64:67], v18, s[8:11], 0 offen offset:1536// 00000000E4B4: E07C1600 80024012
	buffer_store_dwordx4 v[80:83], v18, s[8:11], 0 offen offset:1792// 00000000E4BC: E07C1700 80025012
	v_add_u32_e32 v18, 0x2000, v18                             // 00000000E4C4: 682424FF 00002000
	buffer_store_dwordx4 v[68:71], v18, s[8:11], 0 offen offset:1536// 00000000E4CC: E07C1600 80024412
	buffer_store_dwordx4 v[84:87], v18, s[8:11], 0 offen offset:1792// 00000000E4D4: E07C1700 80025412
	v_add_u32_e32 v18, 0x2000, v18                             // 00000000E4DC: 682424FF 00002000
	buffer_store_dword v25, v26, s[12:15], 0 offen             // 00000000E4E4: E0701000 8003191A
	s_mov_b32 s56, 0x100                                       // 00000000E4EC: BEB800FF 00000100
	v_add_u32_e64 v26, v26, s56                                // 00000000E4F4: D134001A 0000711A

000000000000e4fc <label_307F>:
	s_waitcnt vmcnt(0) expcnt(0) lgkmcnt(0)                    // 00000000E4FC: BF8C0000
	s_endpgm                                                   // 00000000E500: BF810000
